;; amdgpu-corpus repo=ROCm/rocFFT kind=compiled arch=gfx1201 opt=O3
	.text
	.amdgcn_target "amdgcn-amd-amdhsa--gfx1201"
	.amdhsa_code_object_version 6
	.protected	bluestein_single_back_len1248_dim1_dp_op_CI_CI ; -- Begin function bluestein_single_back_len1248_dim1_dp_op_CI_CI
	.globl	bluestein_single_back_len1248_dim1_dp_op_CI_CI
	.p2align	8
	.type	bluestein_single_back_len1248_dim1_dp_op_CI_CI,@function
bluestein_single_back_len1248_dim1_dp_op_CI_CI: ; @bluestein_single_back_len1248_dim1_dp_op_CI_CI
; %bb.0:
	s_load_b128 s[16:19], s[0:1], 0x28
	v_mul_u32_u24_e32 v1, 0x4ed, v0
	s_mov_b32 s2, exec_lo
	v_mov_b32_e32 v5, 0
	s_delay_alu instid0(VALU_DEP_2) | instskip(NEXT) | instid1(VALU_DEP_1)
	v_lshrrev_b32_e32 v1, 16, v1
	v_add_nc_u32_e32 v4, ttmp9, v1
	s_wait_kmcnt 0x0
	s_delay_alu instid0(VALU_DEP_1)
	v_cmpx_gt_u64_e64 s[16:17], v[4:5]
	s_cbranch_execz .LBB0_10
; %bb.1:
	s_clause 0x1
	s_load_b128 s[4:7], s[0:1], 0x18
	s_load_b128 s[8:11], s[0:1], 0x0
	v_mul_lo_u16 v1, v1, 52
	s_load_b64 s[0:1], s[0:1], 0x38
	s_delay_alu instid0(VALU_DEP_1) | instskip(NEXT) | instid1(VALU_DEP_1)
	v_sub_nc_u16 v96, v0, v1
	v_and_b32_e32 v149, 0xffff, v96
	v_mov_b32_e32 v5, v4
	scratch_store_b64 off, v[5:6], off offset:40 ; 8-byte Folded Spill
	s_wait_kmcnt 0x0
	s_load_b128 s[12:15], s[4:5], 0x0
	s_movk_i32 s4, 0xdc40
	s_mov_b32 s5, -1
	s_wait_kmcnt 0x0
	v_mad_co_u64_u32 v[0:1], null, s14, v4, 0
	v_mad_co_u64_u32 v[2:3], null, s12, v149, 0
	s_mul_u64 s[2:3], s[12:13], 0x2700
	s_mul_u64 s[4:5], s[12:13], s[4:5]
	s_delay_alu instid0(VALU_DEP_1) | instskip(NEXT) | instid1(VALU_DEP_1)
	v_mad_co_u64_u32 v[4:5], null, s15, v4, v[1:2]
	v_mad_co_u64_u32 v[5:6], null, s13, v149, v[3:4]
	v_mov_b32_e32 v1, v4
	s_delay_alu instid0(VALU_DEP_1) | instskip(NEXT) | instid1(VALU_DEP_3)
	v_lshlrev_b64_e32 v[0:1], 4, v[0:1]
	v_mov_b32_e32 v3, v5
	s_delay_alu instid0(VALU_DEP_2) | instskip(NEXT) | instid1(VALU_DEP_2)
	v_add_co_u32 v5, vcc_lo, s18, v0
	v_lshlrev_b64_e32 v[2:3], 4, v[2:3]
	s_delay_alu instid0(VALU_DEP_4) | instskip(NEXT) | instid1(VALU_DEP_2)
	v_add_co_ci_u32_e32 v6, vcc_lo, s19, v1, vcc_lo
	v_add_co_u32 v0, vcc_lo, v5, v2
	s_wait_alu 0xfffd
	s_delay_alu instid0(VALU_DEP_2) | instskip(NEXT) | instid1(VALU_DEP_2)
	v_add_co_ci_u32_e32 v1, vcc_lo, v6, v3, vcc_lo
	v_add_co_u32 v8, vcc_lo, v0, s2
	s_wait_alu 0xfffd
	s_delay_alu instid0(VALU_DEP_2) | instskip(NEXT) | instid1(VALU_DEP_2)
	;; [unrolled: 4-line block ×8, first 2 shown]
	v_add_co_ci_u32_e32 v33, vcc_lo, s3, v29, vcc_lo
	v_add_co_u32 v36, vcc_lo, v32, s4
	s_wait_alu 0xfffd
	s_delay_alu instid0(VALU_DEP_2) | instskip(NEXT) | instid1(VALU_DEP_1)
	v_add_co_ci_u32_e32 v37, vcc_lo, s5, v33, vcc_lo
	v_mad_co_u64_u32 v[40:41], null, 0x340, s12, v[36:37]
	s_delay_alu instid0(VALU_DEP_1)
	v_mov_b32_e32 v18, v41
	v_or_b32_e32 v4, 0x340, v149
	v_lshlrev_b32_e32 v242, 4, v149
	s_clause 0x1
	global_load_b128 v[230:233], v242, s[8:9]
	global_load_b128 v[222:225], v242, s[8:9] offset:832
	v_mad_co_u64_u32 v[2:3], null, s12, v4, 0
	s_clause 0x7
	global_load_b128 v[226:229], v242, s[8:9] offset:9984
	global_load_b128 v[218:221], v242, s[8:9] offset:10816
	;; [unrolled: 1-line block ×8, first 2 shown]
	scratch_store_b32 off, v4, off offset:48 ; 4-byte Folded Spill
	s_clause 0x3
	global_load_b128 v[206:209], v242, s[8:9] offset:13312
	global_load_b128 v[186:189], v242, s[8:9] offset:14144
	;; [unrolled: 1-line block ×4, first 2 shown]
	v_mad_co_u64_u32 v[3:4], null, s13, v4, v[3:4]
	s_clause 0x3
	global_load_b128 v[154:157], v242, s[8:9] offset:14976
	global_load_b128 v[158:161], v242, s[8:9] offset:15808
	;; [unrolled: 1-line block ×4, first 2 shown]
	v_mad_co_u64_u32 v[34:35], null, 0x340, s13, v[18:19]
	v_lshlrev_b64_e32 v[2:3], 4, v[2:3]
	s_delay_alu instid0(VALU_DEP_2) | instskip(NEXT) | instid1(VALU_DEP_2)
	v_mov_b32_e32 v41, v34
	v_add_co_u32 v4, vcc_lo, v5, v2
	s_wait_alu 0xfffd
	s_delay_alu instid0(VALU_DEP_3)
	v_add_co_ci_u32_e32 v5, vcc_lo, v6, v3, vcc_lo
	s_clause 0x3
	global_load_b128 v[0:3], v[0:1], off
	global_load_b128 v[4:7], v[4:5], off
	;; [unrolled: 1-line block ×4, first 2 shown]
	v_add_co_u32 v44, vcc_lo, v40, s2
	s_wait_alu 0xfffd
	v_add_co_ci_u32_e32 v45, vcc_lo, s3, v41, vcc_lo
	s_clause 0x1
	global_load_b128 v[170:173], v242, s[8:9] offset:16640
	global_load_b128 v[174:177], v242, s[8:9] offset:17472
	global_load_b128 v[16:19], v[16:17], off
	global_load_b128 v[178:181], v242, s[8:9] offset:8320
	global_load_b128 v[20:23], v[20:21], off
	;; [unrolled: 2-line block ×3, first 2 shown]
	global_load_b128 v[28:31], v[28:29], off
	v_add_co_u32 v48, vcc_lo, v44, s4
	s_wait_alu 0xfffd
	v_add_co_ci_u32_e32 v49, vcc_lo, s5, v45, vcc_lo
	global_load_b128 v[32:35], v[32:33], off
	v_add_co_u32 v52, vcc_lo, v48, s2
	s_wait_alu 0xfffd
	v_add_co_ci_u32_e32 v53, vcc_lo, s3, v49, vcc_lo
	global_load_b128 v[36:39], v[36:37], off
	v_add_co_u32 v56, vcc_lo, v52, s4
	s_wait_alu 0xfffd
	v_add_co_ci_u32_e32 v57, vcc_lo, s5, v53, vcc_lo
	global_load_b128 v[52:55], v[52:53], off
	v_add_co_u32 v60, vcc_lo, v56, s2
	s_wait_alu 0xfffd
	v_add_co_ci_u32_e32 v61, vcc_lo, s3, v57, vcc_lo
	global_load_b128 v[56:59], v[56:57], off
	v_add_co_u32 v64, vcc_lo, v60, s4
	s_wait_alu 0xfffd
	v_add_co_ci_u32_e32 v65, vcc_lo, s5, v61, vcc_lo
	global_load_b128 v[44:47], v[44:45], off
	v_add_co_u32 v68, vcc_lo, v64, s2
	s_wait_alu 0xfffd
	v_add_co_ci_u32_e32 v69, vcc_lo, s3, v65, vcc_lo
	global_load_b128 v[48:51], v[48:49], off
	v_add_co_u32 v72, vcc_lo, v68, s4
	s_wait_alu 0xfffd
	v_add_co_ci_u32_e32 v73, vcc_lo, s5, v69, vcc_lo
	global_load_b128 v[60:63], v[60:61], off
	v_add_co_u32 v76, vcc_lo, v72, s2
	s_wait_alu 0xfffd
	v_add_co_ci_u32_e32 v77, vcc_lo, s3, v73, vcc_lo
	global_load_b128 v[64:67], v[64:65], off
	v_add_co_u32 v80, vcc_lo, v76, s4
	s_wait_alu 0xfffd
	v_add_co_ci_u32_e32 v81, vcc_lo, s5, v77, vcc_lo
	global_load_b128 v[72:75], v[72:73], off
	v_add_co_u32 v84, vcc_lo, v80, s2
	s_wait_alu 0xfffd
	v_add_co_ci_u32_e32 v85, vcc_lo, s3, v81, vcc_lo
	global_load_b128 v[68:71], v[68:69], off
	v_add_co_u32 v88, vcc_lo, v84, s4
	s_wait_alu 0xfffd
	v_add_co_ci_u32_e32 v89, vcc_lo, s5, v85, vcc_lo
	global_load_b128 v[76:79], v[76:77], off
	global_load_b128 v[80:83], v[80:81], off
	v_add_co_u32 v92, vcc_lo, v88, s2
	s_wait_alu 0xfffd
	v_add_co_ci_u32_e32 v93, vcc_lo, s3, v89, vcc_lo
	v_cmp_gt_u16_e32 vcc_lo, 44, v96
	s_wait_loadcnt 0x17
	v_mul_f64_e32 v[97:98], v[2:3], v[232:233]
	v_mul_f64_e32 v[99:100], v[0:1], v[232:233]
	s_wait_loadcnt 0x15
	v_mul_f64_e32 v[105:106], v[10:11], v[228:229]
	s_wait_loadcnt 0x14
	v_mul_f64_e32 v[111:112], v[12:13], v[224:225]
	v_mul_f64_e32 v[109:110], v[14:15], v[224:225]
	;; [unrolled: 1-line block ×5, first 2 shown]
	s_wait_loadcnt 0x11
	v_mul_f64_e32 v[113:114], v[18:19], v[220:221]
	v_mul_f64_e32 v[115:116], v[16:17], v[220:221]
	s_wait_loadcnt 0xf
	v_mul_f64_e32 v[117:118], v[22:23], v[212:213]
	v_mul_f64_e32 v[119:120], v[20:21], v[212:213]
	;; [unrolled: 3-line block ×3, first 2 shown]
	v_mul_f64_e32 v[121:122], v[26:27], v[216:217]
	v_mul_f64_e32 v[123:124], v[24:25], v[216:217]
	s_wait_loadcnt 0xb
	v_mul_f64_e32 v[129:130], v[34:35], v[200:201]
	v_mul_f64_e32 v[131:132], v[32:33], v[200:201]
	s_wait_loadcnt 0xa
	v_mul_f64_e32 v[133:134], v[38:39], v[143:144]
	v_mul_f64_e32 v[135:136], v[36:37], v[143:144]
	v_fma_f64 v[0:1], v[0:1], v[230:231], v[97:98]
	v_fma_f64 v[2:3], v[2:3], v[230:231], -v[99:100]
	v_fma_f64 v[8:9], v[8:9], v[226:227], v[105:106]
	v_fma_f64 v[14:15], v[14:15], v[222:223], -v[111:112]
	s_wait_loadcnt 0x8
	v_mul_f64_e32 v[111:112], v[56:57], v[152:153]
	v_mul_f64_e32 v[105:106], v[54:55], v[156:157]
	v_fma_f64 v[12:13], v[12:13], v[222:223], v[109:110]
	v_mul_f64_e32 v[109:110], v[58:59], v[152:153]
	v_fma_f64 v[10:11], v[10:11], v[226:227], -v[107:108]
	v_mul_f64_e32 v[107:108], v[52:53], v[156:157]
	s_wait_loadcnt 0x7
	v_mul_f64_e32 v[97:98], v[46:47], v[188:189]
	v_mul_f64_e32 v[99:100], v[44:45], v[188:189]
	v_fma_f64 v[4:5], v[4:5], v[206:207], v[101:102]
	v_fma_f64 v[6:7], v[6:7], v[206:207], -v[103:104]
	s_wait_loadcnt 0x6
	v_mul_f64_e32 v[101:102], v[50:51], v[204:205]
	v_mul_f64_e32 v[103:104], v[48:49], v[204:205]
	v_fma_f64 v[16:17], v[16:17], v[218:219], v[113:114]
	v_fma_f64 v[18:19], v[18:19], v[218:219], -v[115:116]
	;; [unrolled: 5-line block ×7, first 2 shown]
	s_wait_loadcnt 0x0
	v_mul_f64_e32 v[133:134], v[82:83], v[180:181]
	v_mul_f64_e32 v[135:136], v[80:81], v[180:181]
	v_fma_f64 v[58:59], v[58:59], v[150:151], -v[111:112]
	v_add_co_u32 v111, null, 0xd0, v149
	v_fma_f64 v[52:53], v[52:53], v[154:155], v[105:106]
	v_fma_f64 v[56:57], v[56:57], v[150:151], v[109:110]
	v_fma_f64 v[54:55], v[54:55], v[154:155], -v[107:108]
	s_delay_alu instid0(VALU_DEP_4)
	v_lshlrev_b32_e32 v106, 5, v111
	global_load_b128 v[40:43], v[40:41], off
	global_load_b128 v[84:87], v[84:85], off
	global_load_b128 v[234:237], v242, s[8:9] offset:9152
	global_load_b128 v[88:91], v[88:89], off
	global_load_b128 v[182:185], v242, s[8:9] offset:19136
	global_load_b128 v[92:95], v[92:93], off
	s_clause 0x3
	scratch_store_b128 off, v[141:144], off offset:164
	scratch_store_b128 off, v[174:177], off offset:148
	;; [unrolled: 1-line block ×4, first 2 shown]
	v_fma_f64 v[44:45], v[44:45], v[186:187], v[97:98]
	v_fma_f64 v[46:47], v[46:47], v[186:187], -v[99:100]
	v_fma_f64 v[48:49], v[48:49], v[202:203], v[101:102]
	v_fma_f64 v[50:51], v[50:51], v[202:203], -v[103:104]
	;; [unrolled: 2-line block ×4, first 2 shown]
	scratch_store_b128 off, v[230:233], off offset:404 ; 16-byte Folded Spill
	v_fma_f64 v[72:73], v[72:73], v[166:167], v[125:126]
	v_fma_f64 v[74:75], v[74:75], v[166:167], -v[127:128]
	s_clause 0x1
	scratch_store_b128 off, v[206:209], off offset:308
	scratch_store_b128 off, v[210:213], off offset:324
	v_fma_f64 v[68:69], v[68:69], v[170:171], v[121:122]
	v_fma_f64 v[70:71], v[70:71], v[170:171], -v[123:124]
	s_clause 0x1
	scratch_store_b128 off, v[226:229], off offset:388
	scratch_store_b128 off, v[222:225], off offset:372
	;; [unrolled: 5-line block ×4, first 2 shown]
	scratch_store_b128 off, v[198:201], off offset:276
	scratch_store_b128 off, v[202:205], off offset:292
	;; [unrolled: 1-line block ×9, first 2 shown]
	s_load_b128 s[4:7], s[6:7], 0x0
	v_add_co_u32 v114, null, v149, 52
	v_add_co_u32 v113, null, 0x68, v149
	;; [unrolled: 1-line block ×10, first 2 shown]
	v_and_b32_e32 v121, 1, v149
	v_lshlrev_b32_e32 v98, 5, v149
	v_lshlrev_b32_e32 v108, 5, v114
	;; [unrolled: 1-line block ×18, first 2 shown]
	s_wait_loadcnt 0x3
	scratch_store_b128 off, v[234:237], off offset:420 ; 16-byte Folded Spill
	s_wait_loadcnt 0x2
	v_mul_f64_e32 v[141:142], v[90:91], v[236:237]
	s_wait_loadcnt 0x1
	scratch_store_b128 off, v[182:185], off offset:196 ; 16-byte Folded Spill
	v_mul_f64_e32 v[137:138], v[42:43], v[147:148]
	v_mul_f64_e32 v[139:140], v[40:41], v[147:148]
	v_mul_f64_e32 v[143:144], v[88:89], v[236:237]
	s_wait_loadcnt 0x0
	v_mul_f64_e32 v[147:148], v[92:93], v[184:185]
	v_fma_f64 v[88:89], v[88:89], v[234:235], v[141:142]
	v_fma_f64 v[40:41], v[40:41], v[145:146], v[137:138]
	v_fma_f64 v[42:43], v[42:43], v[145:146], -v[139:140]
	v_mul_f64_e32 v[137:138], v[86:87], v[192:193]
	v_mul_f64_e32 v[139:140], v[84:85], v[192:193]
	;; [unrolled: 1-line block ×3, first 2 shown]
	v_fma_f64 v[90:91], v[90:91], v[234:235], -v[143:144]
	v_fma_f64 v[94:95], v[94:95], v[182:183], -v[147:148]
	v_fma_f64 v[84:85], v[84:85], v[190:191], v[137:138]
	v_fma_f64 v[86:87], v[86:87], v[190:191], -v[139:140]
	v_fma_f64 v[92:93], v[92:93], v[182:183], v[145:146]
	ds_store_b128 v242, v[0:3]
	ds_store_b128 v242, v[12:15] offset:832
	ds_store_b128 v242, v[8:11] offset:9984
	;; [unrolled: 1-line block ×23, first 2 shown]
	global_wb scope:SCOPE_SE
	s_wait_storecnt_dscnt 0x0
	s_wait_kmcnt 0x0
	s_barrier_signal -1
	s_barrier_wait -1
	global_inv scope:SCOPE_SE
	ds_load_b128 v[0:3], v242
	ds_load_b128 v[4:7], v242 offset:832
	ds_load_b128 v[48:51], v242 offset:9984
	ds_load_b128 v[52:55], v242 offset:10816
	ds_load_b128 v[8:11], v242 offset:1664
	ds_load_b128 v[12:15], v242 offset:2496
	ds_load_b128 v[56:59], v242 offset:11648
	ds_load_b128 v[60:63], v242 offset:12480
	ds_load_b128 v[16:19], v242 offset:3328
	ds_load_b128 v[20:23], v242 offset:4160
	ds_load_b128 v[64:67], v242 offset:13312
	ds_load_b128 v[68:71], v242 offset:14144
	ds_load_b128 v[24:27], v242 offset:4992
	ds_load_b128 v[28:31], v242 offset:5824
	ds_load_b128 v[72:75], v242 offset:14976
	ds_load_b128 v[76:79], v242 offset:15808
	ds_load_b128 v[32:35], v242 offset:6656
	ds_load_b128 v[36:39], v242 offset:7488
	ds_load_b128 v[80:83], v242 offset:16640
	ds_load_b128 v[84:87], v242 offset:17472
	ds_load_b128 v[40:43], v242 offset:8320
	ds_load_b128 v[44:47], v242 offset:9152
	ds_load_b128 v[88:91], v242 offset:18304
	ds_load_b128 v[92:95], v242 offset:19136
	s_wait_dscnt 0x15
	v_add_f64_e64 v[48:49], v[0:1], -v[48:49]
	v_add_f64_e64 v[50:51], v[2:3], -v[50:51]
	s_wait_dscnt 0x14
	v_add_f64_e64 v[52:53], v[4:5], -v[52:53]
	v_add_f64_e64 v[54:55], v[6:7], -v[54:55]
	;; [unrolled: 3-line block ×12, first 2 shown]
	global_wb scope:SCOPE_SE
	s_barrier_signal -1
	s_barrier_wait -1
	global_inv scope:SCOPE_SE
	scratch_store_b32 off, v98, off offset:744 ; 4-byte Folded Spill
	v_fma_f64 v[0:1], v[0:1], 2.0, -v[48:49]
	v_fma_f64 v[2:3], v[2:3], 2.0, -v[50:51]
	;; [unrolled: 1-line block ×24, first 2 shown]
	ds_store_b128 v98, v[0:3]
	ds_store_b128 v98, v[48:51] offset:16
	ds_store_b128 v108, v[4:7]
	scratch_store_b32 off, v108, off offset:1016 ; 4-byte Folded Spill
	ds_store_b128 v108, v[52:55] offset:16
	ds_store_b128 v109, v[8:11]
	scratch_store_b32 off, v109, off offset:1020 ; 4-byte Folded Spill
	;; [unrolled: 3-line block ×11, first 2 shown]
	ds_store_b128 v99, v[92:95] offset:16
	global_wb scope:SCOPE_SE
	s_wait_storecnt_dscnt 0x0
	s_barrier_signal -1
	s_barrier_wait -1
	global_inv scope:SCOPE_SE
	global_load_b128 v[228:231], v97, s[10:11]
	ds_load_b128 v[0:3], v242 offset:9984
	ds_load_b128 v[4:7], v242 offset:10816
	;; [unrolled: 1-line block ×12, first 2 shown]
	s_clause 0x5
	scratch_store_b32 off, v149, off
	scratch_store_b32 off, v114, off offset:436
	scratch_store_b32 off, v112, off offset:440
	;; [unrolled: 1-line block ×5, first 2 shown]
	ds_load_b128 v[48:51], v242
	ds_load_b128 v[52:55], v242 offset:832
	s_clause 0x4
	scratch_store_b32 off, v129, off offset:460
	scratch_store_b32 off, v131, off offset:672
	scratch_store_b32 off, v127, off offset:724
	scratch_store_b32 off, v128, off offset:720
	scratch_store_b32 off, v130, off offset:456
	v_lshlrev_b32_e32 v127, 1, v127
	v_lshlrev_b32_e32 v128, 1, v128
	;; [unrolled: 1-line block ×4, first 2 shown]
	v_and_or_b32 v131, 0x7c, v131, v121
	s_delay_alu instid0(VALU_DEP_1)
	v_lshlrev_b32_e32 v131, 4, v131
	s_wait_loadcnt_dscnt 0xd
	v_mul_f64_e32 v[56:57], v[2:3], v[230:231]
	v_mul_f64_e32 v[58:59], v[0:1], v[230:231]
	s_wait_dscnt 0xc
	v_mul_f64_e32 v[60:61], v[6:7], v[230:231]
	v_mul_f64_e32 v[62:63], v[4:5], v[230:231]
	s_wait_dscnt 0xb
	;; [unrolled: 3-line block ×11, first 2 shown]
	v_mul_f64_e32 v[101:102], v[46:47], v[230:231]
	v_mul_f64_e32 v[103:104], v[44:45], v[230:231]
	v_fma_f64 v[0:1], v[0:1], v[228:229], -v[56:57]
	v_fma_f64 v[2:3], v[2:3], v[228:229], v[58:59]
	v_fma_f64 v[105:106], v[4:5], v[228:229], -v[60:61]
	v_fma_f64 v[107:108], v[6:7], v[228:229], v[62:63]
	;; [unrolled: 2-line block ×12, first 2 shown]
	ds_load_b128 v[4:7], v242 offset:1664
	ds_load_b128 v[28:31], v242 offset:2496
	;; [unrolled: 1-line block ×10, first 2 shown]
	s_clause 0x1
	scratch_store_b32 off, v133, off offset:452
	scratch_store_b32 off, v132, off offset:448
	global_wb scope:SCOPE_SE
	s_wait_storecnt_dscnt 0x0
	s_barrier_signal -1
	s_barrier_wait -1
	global_inv scope:SCOPE_SE
	scratch_store_b32 off, v131, off offset:824 ; 4-byte Folded Spill
	v_add_f64_e64 v[72:73], v[48:49], -v[0:1]
	v_add_f64_e64 v[74:75], v[50:51], -v[2:3]
	v_add_f64_e64 v[76:77], v[52:53], -v[105:106]
	v_add_f64_e64 v[78:79], v[54:55], -v[107:108]
	v_add_f64_e64 v[80:81], v[4:5], -v[8:9]
	v_add_f64_e64 v[82:83], v[6:7], -v[10:11]
	v_add_f64_e64 v[84:85], v[28:29], -v[12:13]
	v_add_f64_e64 v[86:87], v[30:31], -v[14:15]
	v_add_f64_e64 v[88:89], v[32:33], -v[16:17]
	v_add_f64_e64 v[90:91], v[34:35], -v[18:19]
	v_add_f64_e64 v[92:93], v[36:37], -v[20:21]
	v_add_f64_e64 v[94:95], v[38:39], -v[22:23]
	v_add_f64_e64 v[0:1], v[40:41], -v[24:25]
	v_add_f64_e64 v[2:3], v[42:43], -v[26:27]
	v_add_f64_e64 v[24:25], v[44:45], -v[109:110]
	v_add_f64_e64 v[26:27], v[46:47], -v[111:112]
	v_add_f64_e64 v[12:13], v[56:57], -v[113:114]
	v_add_f64_e64 v[14:15], v[58:59], -v[115:116]
	v_add_f64_e64 v[16:17], v[60:61], -v[117:118]
	v_add_f64_e64 v[18:19], v[62:63], -v[119:120]
	v_add_f64_e64 v[20:21], v[64:65], -v[97:98]
	v_add_f64_e64 v[22:23], v[66:67], -v[99:100]
	v_add_f64_e64 v[8:9], v[68:69], -v[101:102]
	v_add_f64_e64 v[10:11], v[70:71], -v[103:104]
	v_lshlrev_b32_e32 v97, 1, v133
	v_lshlrev_b32_e32 v98, 1, v132
	v_and_or_b32 v113, 0xfc, v122, v121
	v_and_or_b32 v114, 0x1fc, v123, v121
	;; [unrolled: 1-line block ×10, first 2 shown]
	v_fma_f64 v[48:49], v[48:49], 2.0, -v[72:73]
	v_fma_f64 v[50:51], v[50:51], 2.0, -v[74:75]
	v_and_or_b32 v121, 0x4fc, v98, v121
	v_fma_f64 v[52:53], v[52:53], 2.0, -v[76:77]
	v_fma_f64 v[54:55], v[54:55], 2.0, -v[78:79]
	;; [unrolled: 1-line block ×22, first 2 shown]
	v_lshlrev_b32_e32 v66, 4, v113
	v_lshlrev_b32_e32 v65, 4, v114
	;; [unrolled: 1-line block ×11, first 2 shown]
	ds_store_b128 v131, v[48:51]
	ds_store_b128 v131, v[72:75] offset:32
	ds_store_b128 v66, v[52:55]
	scratch_store_b32 off, v66, off offset:976 ; 4-byte Folded Spill
	ds_store_b128 v66, v[76:79] offset:32
	ds_store_b128 v65, v[4:7]
	scratch_store_b32 off, v65, off offset:972 ; 4-byte Folded Spill
	ds_store_b128 v65, v[80:83] offset:32
	ds_store_b128 v64, v[97:100]
	scratch_store_b32 off, v64, off offset:968 ; 4-byte Folded Spill
	ds_store_b128 v64, v[84:87] offset:32
	ds_store_b128 v63, v[101:104]
	scratch_store_b32 off, v63, off offset:852 ; 4-byte Folded Spill
	ds_store_b128 v63, v[88:91] offset:32
	ds_store_b128 v62, v[105:108]
	scratch_store_b32 off, v62, off offset:848 ; 4-byte Folded Spill
	ds_store_b128 v62, v[92:95] offset:32
	ds_store_b128 v61, v[109:112]
	scratch_store_b32 off, v61, off offset:844 ; 4-byte Folded Spill
	ds_store_b128 v61, v[0:3] offset:32
	ds_store_b128 v60, v[44:47]
	scratch_store_b32 off, v60, off offset:840 ; 4-byte Folded Spill
	ds_store_b128 v60, v[24:27] offset:32
	ds_store_b128 v59, v[28:31]
	scratch_store_b32 off, v59, off offset:836 ; 4-byte Folded Spill
	ds_store_b128 v59, v[12:15] offset:32
	ds_store_b128 v58, v[32:35]
	scratch_store_b32 off, v58, off offset:832 ; 4-byte Folded Spill
	ds_store_b128 v58, v[16:19] offset:32
	ds_store_b128 v57, v[36:39]
	scratch_store_b32 off, v57, off offset:820 ; 4-byte Folded Spill
	ds_store_b128 v57, v[20:23] offset:32
	ds_store_b128 v56, v[40:43]
	scratch_store_b32 off, v56, off offset:816 ; 4-byte Folded Spill
	ds_store_b128 v56, v[8:11] offset:32
	global_wb scope:SCOPE_SE
	s_wait_storecnt_dscnt 0x0
	s_barrier_signal -1
	s_barrier_wait -1
	global_inv scope:SCOPE_SE
	ds_load_b128 v[4:7], v242
	ds_load_b128 v[100:103], v242 offset:1536
	ds_load_b128 v[92:95], v242 offset:3072
	;; [unrolled: 1-line block ×12, first 2 shown]
	v_add_co_u32 v48, s2, s8, v242
	s_wait_alu 0xf1ff
	v_add_co_ci_u32_e64 v49, null, s9, 0, s2
                                        ; implicit-def: $vgpr52_vgpr53
	scratch_store_b64 off, v[48:49], off offset:1024 ; 8-byte Folded Spill
                                        ; implicit-def: $vgpr48_vgpr49
	s_and_saveexec_b32 s2, vcc_lo
	s_cbranch_execz .LBB0_3
; %bb.2:
	ds_load_b128 v[0:3], v242 offset:832
	ds_load_b128 v[44:47], v242 offset:2368
	ds_load_b128 v[24:27], v242 offset:3904
	ds_load_b128 v[28:31], v242 offset:5440
	ds_load_b128 v[12:15], v242 offset:6976
	ds_load_b128 v[32:35], v242 offset:8512
	ds_load_b128 v[16:19], v242 offset:10048
	ds_load_b128 v[36:39], v242 offset:11584
	ds_load_b128 v[20:23], v242 offset:13120
	ds_load_b128 v[40:43], v242 offset:14656
	ds_load_b128 v[8:11], v242 offset:16192
	ds_load_b128 v[48:51], v242 offset:17728
	ds_load_b128 v[52:55], v242 offset:19264
.LBB0_3:
	s_wait_alu 0xfffe
	s_or_b32 exec_lo, exec_lo, s2
	scratch_load_b32 v243, off, off         ; 4-byte Folded Reload
	s_mov_b32 s22, 0x4267c47c
	s_mov_b32 s26, 0x42a4c3d2
	;; [unrolled: 1-line block ×36, first 2 shown]
	s_wait_loadcnt 0x0
	v_and_b32_e32 v96, 3, v243
	scratch_store_b32 off, v96, off offset:4 ; 4-byte Folded Spill
	v_mul_u32_u24_e32 v96, 12, v96
	s_delay_alu instid0(VALU_DEP_1)
	v_lshlrev_b32_e32 v132, 4, v96
	s_clause 0x8
	global_load_b128 v[96:99], v132, s[10:11] offset:32
	global_load_b128 v[112:115], v132, s[10:11] offset:64
	;; [unrolled: 1-line block ×9, first 2 shown]
	s_wait_loadcnt_dscnt 0x80b
	v_mul_f64_e32 v[108:109], v[100:101], v[98:99]
	s_delay_alu instid0(VALU_DEP_1) | instskip(SKIP_3) | instid1(VALU_DEP_3)
	v_fma_f64 v[180:181], v[102:103], v[96:97], v[108:109]
	v_mul_f64_e32 v[102:103], v[102:103], v[98:99]
	s_wait_loadcnt_dscnt 0x600
	v_mul_f64_e32 v[108:109], v[104:105], v[186:187]
	v_add_f64_e32 v[244:245], v[6:7], v[180:181]
	s_delay_alu instid0(VALU_DEP_3) | instskip(SKIP_3) | instid1(VALU_DEP_1)
	v_fma_f64 v[182:183], v[100:101], v[96:97], -v[102:103]
	global_load_b128 v[100:103], v132, s[10:11] offset:48
	v_fma_f64 v[144:145], v[106:107], v[184:185], v[108:109]
	v_mul_f64_e32 v[106:107], v[106:107], v[186:187]
	v_fma_f64 v[146:147], v[104:105], v[184:185], -v[106:107]
	s_wait_loadcnt 0x0
	v_mul_f64_e32 v[108:109], v[94:95], v[102:103]
	scratch_store_b128 off, v[100:103], off offset:1064 ; 16-byte Folded Spill
	v_fma_f64 v[150:151], v[92:93], v[100:101], -v[108:109]
	global_load_b128 v[108:111], v132, s[10:11] offset:192
	v_mul_f64_e32 v[92:93], v[92:93], v[102:103]
	global_load_b128 v[132:135], v132, s[10:11] offset:144
	v_fma_f64 v[94:95], v[94:95], v[100:101], v[92:93]
	s_wait_loadcnt 0x1
	v_mul_f64_e32 v[92:93], v[88:89], v[110:111]
	s_delay_alu instid0(VALU_DEP_1) | instskip(SKIP_1) | instid1(VALU_DEP_2)
	v_fma_f64 v[92:93], v[90:91], v[108:109], v[92:93]
	v_mul_f64_e32 v[90:91], v[90:91], v[110:111]
	v_add_f64_e64 v[204:205], v[94:95], -v[92:93]
	s_delay_alu instid0(VALU_DEP_2) | instskip(SKIP_2) | instid1(VALU_DEP_3)
	v_fma_f64 v[88:89], v[88:89], v[108:109], -v[90:91]
	v_mul_f64_e32 v[90:91], v[82:83], v[114:115]
	v_add_f64_e32 v[194:195], v[94:95], v[92:93]
	v_add_f64_e32 v[192:193], v[150:151], v[88:89]
	s_delay_alu instid0(VALU_DEP_3) | instskip(SKIP_2) | instid1(VALU_DEP_2)
	v_fma_f64 v[152:153], v[80:81], v[112:113], -v[90:91]
	v_mul_f64_e32 v[80:81], v[80:81], v[114:115]
	v_add_f64_e64 v[206:207], v[150:151], -v[88:89]
	v_fma_f64 v[154:155], v[82:83], v[112:113], v[80:81]
	v_mul_f64_e32 v[80:81], v[86:87], v[118:119]
	s_delay_alu instid0(VALU_DEP_1) | instskip(SKIP_1) | instid1(VALU_DEP_2)
	v_fma_f64 v[90:91], v[84:85], v[116:117], -v[80:81]
	v_mul_f64_e32 v[80:81], v[84:85], v[118:119]
	v_add_f64_e32 v[196:197], v[152:153], v[90:91]
	s_delay_alu instid0(VALU_DEP_2) | instskip(SKIP_2) | instid1(VALU_DEP_3)
	v_fma_f64 v[86:87], v[86:87], v[116:117], v[80:81]
	v_mul_f64_e32 v[80:81], v[78:79], v[122:123]
	v_add_f64_e64 v[210:211], v[152:153], -v[90:91]
	v_add_f64_e64 v[208:209], v[154:155], -v[86:87]
	s_delay_alu instid0(VALU_DEP_3) | instskip(SKIP_2) | instid1(VALU_DEP_2)
	v_fma_f64 v[158:159], v[76:77], v[120:121], -v[80:81]
	v_mul_f64_e32 v[76:77], v[76:77], v[122:123]
	v_add_f64_e32 v[198:199], v[154:155], v[86:87]
	v_fma_f64 v[160:161], v[78:79], v[120:121], v[76:77]
	v_mul_f64_e32 v[76:77], v[72:73], v[126:127]
	s_delay_alu instid0(VALU_DEP_1) | instskip(SKIP_1) | instid1(VALU_DEP_2)
	v_fma_f64 v[156:157], v[74:75], v[124:125], v[76:77]
	v_mul_f64_e32 v[74:75], v[74:75], v[126:127]
	v_add_f64_e64 v[212:213], v[160:161], -v[156:157]
	s_delay_alu instid0(VALU_DEP_2) | instskip(SKIP_2) | instid1(VALU_DEP_3)
	v_fma_f64 v[162:163], v[72:73], v[124:125], -v[74:75]
	v_mul_f64_e32 v[72:73], v[70:71], v[130:131]
	v_add_f64_e32 v[190:191], v[160:161], v[156:157]
	v_add_f64_e64 v[214:215], v[158:159], -v[162:163]
	s_delay_alu instid0(VALU_DEP_3) | instskip(SKIP_1) | instid1(VALU_DEP_1)
	v_fma_f64 v[164:165], v[68:69], v[128:129], -v[72:73]
	v_mul_f64_e32 v[68:69], v[68:69], v[130:131]
	v_fma_f64 v[166:167], v[70:71], v[128:129], v[68:69]
	v_mul_f64_e32 v[68:69], v[66:67], v[142:143]
	s_delay_alu instid0(VALU_DEP_1) | instskip(SKIP_1) | instid1(VALU_DEP_1)
	v_fma_f64 v[168:169], v[64:65], v[140:141], -v[68:69]
	v_mul_f64_e32 v[64:65], v[64:65], v[142:143]
	v_fma_f64 v[170:171], v[66:67], v[140:141], v[64:65]
	v_mul_f64_e32 v[64:65], v[62:63], v[138:139]
	s_delay_alu instid0(VALU_DEP_1) | instskip(SKIP_1) | instid1(VALU_DEP_2)
	v_fma_f64 v[172:173], v[60:61], v[136:137], -v[64:65]
	v_mul_f64_e32 v[60:61], v[60:61], v[138:139]
	v_add_f64_e64 v[226:227], v[168:169], -v[172:173]
	s_delay_alu instid0(VALU_DEP_2) | instskip(SKIP_2) | instid1(VALU_DEP_2)
	v_fma_f64 v[174:175], v[62:63], v[136:137], v[60:61]
	s_wait_loadcnt 0x0
	v_mul_f64_e32 v[60:61], v[58:59], v[134:135]
	v_add_f64_e64 v[224:225], v[170:171], -v[174:175]
	s_delay_alu instid0(VALU_DEP_2) | instskip(SKIP_3) | instid1(VALU_DEP_4)
	v_fma_f64 v[176:177], v[56:57], v[132:133], -v[60:61]
	v_mul_f64_e32 v[56:57], v[56:57], v[134:135]
	v_add_f64_e32 v[60:61], v[180:181], v[144:145]
	v_add_f64_e32 v[188:189], v[170:171], v[174:175]
	v_add_f64_e64 v[222:223], v[164:165], -v[176:177]
	s_delay_alu instid0(VALU_DEP_4) | instskip(SKIP_1) | instid1(VALU_DEP_2)
	v_fma_f64 v[178:179], v[58:59], v[132:133], v[56:57]
	v_mul_f64_e32 v[56:57], v[46:47], v[98:99]
	v_add_f64_e64 v[220:221], v[166:167], -v[178:179]
	s_delay_alu instid0(VALU_DEP_2) | instskip(SKIP_1) | instid1(VALU_DEP_1)
	v_fma_f64 v[252:253], v[44:45], v[96:97], -v[56:57]
	v_mul_f64_e32 v[44:45], v[44:45], v[98:99]
	v_fma_f64 v[104:105], v[46:47], v[96:97], v[44:45]
	v_mul_f64_e32 v[44:45], v[26:27], v[102:103]
	s_delay_alu instid0(VALU_DEP_2) | instskip(NEXT) | instid1(VALU_DEP_2)
	v_mov_b32_e32 v107, v105
	v_fma_f64 v[46:47], v[24:25], v[100:101], -v[44:45]
	v_mul_f64_e32 v[24:25], v[24:25], v[102:103]
	s_delay_alu instid0(VALU_DEP_1) | instskip(SKIP_1) | instid1(VALU_DEP_1)
	v_fma_f64 v[72:73], v[26:27], v[100:101], v[24:25]
	v_mul_f64_e32 v[24:25], v[30:31], v[114:115]
	v_fma_f64 v[74:75], v[28:29], v[112:113], -v[24:25]
	v_mul_f64_e32 v[24:25], v[28:29], v[114:115]
	s_delay_alu instid0(VALU_DEP_1) | instskip(SKIP_1) | instid1(VALU_DEP_1)
	v_fma_f64 v[76:77], v[30:31], v[112:113], v[24:25]
	v_mul_f64_e32 v[24:25], v[14:15], v[122:123]
	;; [unrolled: 5-line block ×3, first 2 shown]
	v_fma_f64 v[12:13], v[32:33], v[128:129], -v[12:13]
	s_clause 0x1
	scratch_store_b128 off, v[96:99], off offset:1032
	scratch_store_b64 off, v[12:13], off offset:480
	v_mul_f64_e32 v[12:13], v[32:33], v[130:131]
	s_delay_alu instid0(VALU_DEP_1) | instskip(SKIP_1) | instid1(VALU_DEP_1)
	v_fma_f64 v[84:85], v[34:35], v[128:129], v[12:13]
	v_mul_f64_e32 v[12:13], v[18:19], v[142:143]
	v_fma_f64 v[82:83], v[16:17], v[140:141], -v[12:13]
	v_mul_f64_e32 v[12:13], v[16:17], v[142:143]
	s_delay_alu instid0(VALU_DEP_1) | instskip(SKIP_1) | instid1(VALU_DEP_1)
	v_fma_f64 v[96:97], v[18:19], v[140:141], v[12:13]
	v_mul_f64_e32 v[12:13], v[38:39], v[138:139]
	v_fma_f64 v[12:13], v[36:37], v[136:137], -v[12:13]
	s_clause 0x1
	scratch_store_b64 off, v[24:25], off offset:472
	scratch_store_b64 off, v[12:13], off offset:464
	v_mul_f64_e32 v[12:13], v[36:37], v[138:139]
	s_delay_alu instid0(VALU_DEP_1) | instskip(SKIP_2) | instid1(VALU_DEP_2)
	v_fma_f64 v[38:39], v[38:39], v[136:137], v[12:13]
	v_mul_f64_e32 v[12:13], v[22:23], v[134:135]
	v_mov_b32_e32 v106, v104
	v_fma_f64 v[36:37], v[20:21], v[132:133], -v[12:13]
	v_mul_f64_e32 v[12:13], v[20:21], v[134:135]
	v_add_f64_e32 v[20:21], v[182:183], v[146:147]
	s_delay_alu instid0(VALU_DEP_2) | instskip(SKIP_1) | instid1(VALU_DEP_1)
	v_fma_f64 v[98:99], v[22:23], v[132:133], v[12:13]
	v_mul_f64_e32 v[12:13], v[42:43], v[126:127]
	v_fma_f64 v[100:101], v[40:41], v[124:125], -v[12:13]
	v_mul_f64_e32 v[12:13], v[40:41], v[126:127]
	s_delay_alu instid0(VALU_DEP_1) | instskip(SKIP_1) | instid1(VALU_DEP_1)
	v_fma_f64 v[40:41], v[42:43], v[124:125], v[12:13]
	v_mul_f64_e32 v[12:13], v[10:11], v[118:119]
	v_fma_f64 v[102:103], v[8:9], v[116:117], -v[12:13]
	v_mul_f64_e32 v[8:9], v[8:9], v[118:119]
	s_delay_alu instid0(VALU_DEP_1) | instskip(SKIP_1) | instid1(VALU_DEP_1)
	v_fma_f64 v[78:79], v[10:11], v[116:117], v[8:9]
	v_mul_f64_e32 v[8:9], v[50:51], v[110:111]
	v_fma_f64 v[42:43], v[48:49], v[108:109], -v[8:9]
	v_mul_f64_e32 v[8:9], v[48:49], v[110:111]
	v_dual_mov_b32 v48, v252 :: v_dual_mov_b32 v49, v253
	s_delay_alu instid0(VALU_DEP_2) | instskip(SKIP_1) | instid1(VALU_DEP_1)
	v_fma_f64 v[50:51], v[50:51], v[108:109], v[8:9]
	v_mul_f64_e32 v[8:9], v[54:55], v[186:187]
	v_fma_f64 v[254:255], v[52:53], v[184:185], -v[8:9]
	v_mul_f64_e32 v[8:9], v[52:53], v[186:187]
	scratch_store_b128 off, v[184:187], off offset:1048 ; 16-byte Folded Spill
	v_add_f64_e32 v[186:187], v[158:159], v[162:163]
	scratch_store_b64 off, v[254:255], off offset:704 ; 8-byte Folded Spill
	v_fma_f64 v[52:53], v[54:55], v[184:185], v[8:9]
	v_add_f64_e64 v[8:9], v[180:181], -v[144:145]
	v_add_f64_e32 v[180:181], v[164:165], v[176:177]
	v_add_f64_e32 v[246:247], v[252:253], v[254:255]
	s_clause 0x4
	scratch_store_b64 off, v[46:47], off offset:488
	scratch_store_b64 off, v[42:43], off offset:640
	;; [unrolled: 1-line block ×5, first 2 shown]
	v_add_f64_e64 v[250:251], v[104:105], -v[52:53]
	v_mul_f64_e32 v[10:11], s[22:23], v[8:9]
	v_mul_f64_e32 v[12:13], s[26:27], v[8:9]
	;; [unrolled: 1-line block ×7, first 2 shown]
	v_fma_f64 v[22:23], v[20:21], s[20:21], -v[10:11]
	v_fma_f64 v[10:11], v[20:21], s[20:21], v[10:11]
	s_wait_alu 0xfffe
	v_fma_f64 v[24:25], v[20:21], s[16:17], -v[12:13]
	v_fma_f64 v[12:13], v[20:21], s[16:17], v[12:13]
	v_fma_f64 v[26:27], v[20:21], s[18:19], -v[14:15]
	v_fma_f64 v[14:15], v[20:21], s[18:19], v[14:15]
	;; [unrolled: 2-line block ×5, first 2 shown]
	v_add_f64_e64 v[20:21], v[182:183], -v[146:147]
	v_add_f64_e32 v[22:23], v[4:5], v[22:23]
	v_add_f64_e32 v[10:11], v[4:5], v[10:11]
	;; [unrolled: 1-line block ×10, first 2 shown]
	v_mul_f64_e32 v[16:17], s[34:35], v[208:209]
	v_mul_f64_e32 v[58:59], s[30:31], v[20:21]
	;; [unrolled: 1-line block ×7, first 2 shown]
	v_fma_f64 v[18:19], v[196:197], s[18:19], -v[16:17]
	v_fma_f64 v[148:149], v[60:61], s[12:13], v[58:59]
	v_fma_f64 v[62:63], v[60:61], s[20:21], v[34:35]
	;; [unrolled: 1-line block ×3, first 2 shown]
	v_fma_f64 v[66:67], v[60:61], s[16:17], -v[44:45]
	v_fma_f64 v[68:69], v[60:61], s[18:19], v[54:55]
	v_fma_f64 v[34:35], v[60:61], s[20:21], -v[34:35]
	v_fma_f64 v[54:55], v[60:61], s[18:19], -v[54:55]
	v_fma_f64 v[70:71], v[60:61], s[14:15], v[56:57]
	v_fma_f64 v[56:57], v[60:61], s[14:15], -v[56:57]
	;; [unrolled: 3-line block ×3, first 2 shown]
	v_add_f64_e32 v[44:45], v[4:5], v[182:183]
	v_add_f64_e32 v[182:183], v[168:169], v[172:173]
	;; [unrolled: 1-line block ×4, first 2 shown]
	v_mul_f64_e32 v[8:9], s[26:27], v[204:205]
	v_add_f64_e32 v[60:61], v[6:7], v[62:63]
	v_add_f64_e32 v[62:63], v[6:7], v[64:65]
	;; [unrolled: 1-line block ×5, first 2 shown]
	v_mul_f64_e32 v[14:15], s[26:27], v[206:207]
	v_add_f64_e32 v[34:35], v[6:7], v[34:35]
	v_add_f64_e32 v[232:233], v[6:7], v[54:55]
	;; [unrolled: 1-line block ×9, first 2 shown]
	v_fma_f64 v[4:5], v[192:193], s[16:17], -v[8:9]
	v_fma_f64 v[8:9], v[192:193], s[16:17], v[8:9]
	v_fma_f64 v[6:7], v[194:195], s[16:17], v[14:15]
	s_delay_alu instid0(VALU_DEP_4) | instskip(NEXT) | instid1(VALU_DEP_4)
	v_add_f64_e32 v[44:45], v[44:45], v[152:153]
	v_add_f64_e32 v[4:5], v[4:5], v[22:23]
	s_delay_alu instid0(VALU_DEP_4)
	v_add_f64_e32 v[8:9], v[8:9], v[10:11]
	v_fma_f64 v[10:11], v[194:195], s[16:17], -v[14:15]
	v_fma_f64 v[14:15], v[196:197], s[18:19], v[16:17]
	v_add_f64_e32 v[6:7], v[6:7], v[60:61]
	v_add_f64_e32 v[44:45], v[44:45], v[158:159]
	;; [unrolled: 1-line block ×3, first 2 shown]
	v_mul_f64_e32 v[18:19], s[34:35], v[210:211]
	v_add_f64_e32 v[10:11], v[10:11], v[34:35]
	v_add_f64_e32 v[8:9], v[14:15], v[8:9]
	;; [unrolled: 1-line block ×3, first 2 shown]
	s_delay_alu instid0(VALU_DEP_4) | instskip(SKIP_1) | instid1(VALU_DEP_3)
	v_fma_f64 v[20:21], v[198:199], s[18:19], v[18:19]
	v_fma_f64 v[14:15], v[198:199], s[18:19], -v[18:19]
	v_add_f64_e32 v[44:45], v[44:45], v[168:169]
	s_delay_alu instid0(VALU_DEP_3) | instskip(SKIP_1) | instid1(VALU_DEP_4)
	v_add_f64_e32 v[6:7], v[20:21], v[6:7]
	v_mul_f64_e32 v[20:21], s[24:25], v[212:213]
	v_add_f64_e32 v[10:11], v[14:15], v[10:11]
	s_delay_alu instid0(VALU_DEP_4) | instskip(NEXT) | instid1(VALU_DEP_3)
	v_add_f64_e32 v[44:45], v[44:45], v[172:173]
	v_fma_f64 v[22:23], v[186:187], s[14:15], -v[20:21]
	v_fma_f64 v[14:15], v[186:187], s[14:15], v[20:21]
	v_mul_f64_e32 v[20:21], s[24:25], v[206:207]
	s_delay_alu instid0(VALU_DEP_4) | instskip(NEXT) | instid1(VALU_DEP_4)
	v_add_f64_e32 v[44:45], v[44:45], v[176:177]
	v_add_f64_e32 v[4:5], v[22:23], v[4:5]
	v_mul_f64_e32 v[22:23], s[24:25], v[214:215]
	v_add_f64_e32 v[8:9], v[14:15], v[8:9]
	v_fma_f64 v[18:19], v[194:195], s[14:15], v[20:21]
	v_add_f64_e32 v[44:45], v[44:45], v[162:163]
	s_delay_alu instid0(VALU_DEP_4)
	v_fma_f64 v[30:31], v[190:191], s[14:15], v[22:23]
	v_fma_f64 v[14:15], v[190:191], s[14:15], -v[22:23]
	v_mul_f64_e32 v[22:23], s[28:29], v[208:209]
	v_add_f64_e32 v[18:19], v[18:19], v[62:63]
	v_add_f64_e32 v[44:45], v[44:45], v[90:91]
	;; [unrolled: 1-line block ×3, first 2 shown]
	v_mul_f64_e32 v[30:31], s[30:31], v[220:221]
	v_add_f64_e32 v[10:11], v[14:15], v[10:11]
	s_delay_alu instid0(VALU_DEP_4) | instskip(NEXT) | instid1(VALU_DEP_3)
	v_add_f64_e32 v[44:45], v[44:45], v[88:89]
	v_fma_f64 v[32:33], v[180:181], s[12:13], -v[30:31]
	v_fma_f64 v[14:15], v[180:181], s[12:13], v[30:31]
	s_delay_alu instid0(VALU_DEP_2) | instskip(SKIP_1) | instid1(VALU_DEP_3)
	v_add_f64_e32 v[4:5], v[32:33], v[4:5]
	v_mul_f64_e32 v[32:33], s[30:31], v[222:223]
	v_add_f64_e32 v[8:9], v[14:15], v[8:9]
	s_delay_alu instid0(VALU_DEP_2) | instskip(SKIP_1) | instid1(VALU_DEP_2)
	v_fma_f64 v[58:59], v[184:185], s[12:13], v[32:33]
	v_fma_f64 v[14:15], v[184:185], s[12:13], -v[32:33]
	v_add_f64_e32 v[6:7], v[58:59], v[6:7]
	v_mul_f64_e32 v[58:59], s[28:29], v[224:225]
	s_delay_alu instid0(VALU_DEP_3) | instskip(NEXT) | instid1(VALU_DEP_2)
	v_add_f64_e32 v[10:11], v[14:15], v[10:11]
	v_fma_f64 v[60:61], v[182:183], s[2:3], -v[58:59]
	v_fma_f64 v[14:15], v[182:183], s[2:3], v[58:59]
	s_delay_alu instid0(VALU_DEP_2) | instskip(SKIP_1) | instid1(VALU_DEP_3)
	v_add_f64_e32 v[4:5], v[60:61], v[4:5]
	v_mul_f64_e32 v[60:61], s[28:29], v[226:227]
	v_add_f64_e32 v[8:9], v[14:15], v[8:9]
	v_mul_f64_e32 v[14:15], s[24:25], v[204:205]
	s_delay_alu instid0(VALU_DEP_3) | instskip(SKIP_1) | instid1(VALU_DEP_2)
	v_fma_f64 v[16:17], v[188:189], s[2:3], -v[60:61]
	v_fma_f64 v[240:241], v[188:189], s[2:3], v[60:61]
	v_add_f64_e32 v[10:11], v[16:17], v[10:11]
	s_delay_alu instid0(VALU_DEP_4) | instskip(SKIP_1) | instid1(VALU_DEP_4)
	v_fma_f64 v[16:17], v[192:193], s[14:15], -v[14:15]
	v_fma_f64 v[14:15], v[192:193], s[14:15], v[14:15]
	v_add_f64_e32 v[6:7], v[240:241], v[6:7]
	s_delay_alu instid0(VALU_DEP_3) | instskip(SKIP_1) | instid1(VALU_DEP_4)
	v_add_f64_e32 v[16:17], v[16:17], v[24:25]
	v_fma_f64 v[24:25], v[196:197], s[2:3], -v[22:23]
	v_add_f64_e32 v[12:13], v[14:15], v[12:13]
	v_fma_f64 v[14:15], v[194:195], s[14:15], -v[20:21]
	v_fma_f64 v[20:21], v[196:197], s[2:3], v[22:23]
	s_delay_alu instid0(VALU_DEP_4) | instskip(SKIP_1) | instid1(VALU_DEP_4)
	v_add_f64_e32 v[16:17], v[24:25], v[16:17]
	v_mul_f64_e32 v[24:25], s[28:29], v[210:211]
	v_add_f64_e32 v[14:15], v[14:15], v[64:65]
	s_delay_alu instid0(VALU_DEP_4) | instskip(NEXT) | instid1(VALU_DEP_3)
	v_add_f64_e32 v[12:13], v[20:21], v[12:13]
	v_fma_f64 v[30:31], v[198:199], s[2:3], v[24:25]
	v_fma_f64 v[20:21], v[198:199], s[2:3], -v[24:25]
	v_mul_f64_e32 v[24:25], s[28:29], v[204:205]
	s_delay_alu instid0(VALU_DEP_3) | instskip(SKIP_1) | instid1(VALU_DEP_4)
	v_add_f64_e32 v[18:19], v[30:31], v[18:19]
	v_mul_f64_e32 v[30:31], s[36:37], v[212:213]
	v_add_f64_e32 v[14:15], v[20:21], v[14:15]
	s_delay_alu instid0(VALU_DEP_2) | instskip(SKIP_2) | instid1(VALU_DEP_3)
	v_fma_f64 v[32:33], v[186:187], s[12:13], -v[30:31]
	v_fma_f64 v[20:21], v[186:187], s[12:13], v[30:31]
	v_mul_f64_e32 v[30:31], s[42:43], v[208:209]
	v_add_f64_e32 v[16:17], v[32:33], v[16:17]
	v_mul_f64_e32 v[32:33], s[36:37], v[214:215]
	s_delay_alu instid0(VALU_DEP_4) | instskip(NEXT) | instid1(VALU_DEP_2)
	v_add_f64_e32 v[12:13], v[20:21], v[12:13]
	v_fma_f64 v[34:35], v[190:191], s[12:13], v[32:33]
	v_fma_f64 v[20:21], v[190:191], s[12:13], -v[32:33]
	v_fma_f64 v[32:33], v[196:197], s[14:15], -v[30:31]
	v_fma_f64 v[30:31], v[196:197], s[14:15], v[30:31]
	s_delay_alu instid0(VALU_DEP_4) | instskip(SKIP_2) | instid1(VALU_DEP_2)
	v_add_f64_e32 v[18:19], v[34:35], v[18:19]
	v_mul_f64_e32 v[34:35], s[38:39], v[220:221]
	v_add_f64_e32 v[14:15], v[20:21], v[14:15]
	v_fma_f64 v[58:59], v[180:181], s[18:19], -v[34:35]
	v_fma_f64 v[20:21], v[180:181], s[18:19], v[34:35]
	s_delay_alu instid0(VALU_DEP_2) | instskip(SKIP_1) | instid1(VALU_DEP_3)
	v_add_f64_e32 v[16:17], v[58:59], v[16:17]
	v_mul_f64_e32 v[58:59], s[38:39], v[222:223]
	v_add_f64_e32 v[12:13], v[20:21], v[12:13]
	s_delay_alu instid0(VALU_DEP_2) | instskip(SKIP_1) | instid1(VALU_DEP_2)
	v_fma_f64 v[60:61], v[184:185], s[18:19], v[58:59]
	v_fma_f64 v[20:21], v[184:185], s[18:19], -v[58:59]
	v_add_f64_e32 v[18:19], v[60:61], v[18:19]
	v_mul_f64_e32 v[60:61], s[40:41], v[224:225]
	s_delay_alu instid0(VALU_DEP_3) | instskip(NEXT) | instid1(VALU_DEP_2)
	v_add_f64_e32 v[14:15], v[20:21], v[14:15]
	v_fma_f64 v[62:63], v[182:183], s[20:21], -v[60:61]
	v_fma_f64 v[20:21], v[182:183], s[20:21], v[60:61]
	s_delay_alu instid0(VALU_DEP_2) | instskip(SKIP_1) | instid1(VALU_DEP_3)
	v_add_f64_e32 v[16:17], v[62:63], v[16:17]
	v_mul_f64_e32 v[62:63], s[40:41], v[226:227]
	v_add_f64_e32 v[12:13], v[20:21], v[12:13]
	v_fma_f64 v[20:21], v[192:193], s[2:3], -v[24:25]
	v_fma_f64 v[24:25], v[192:193], s[2:3], v[24:25]
	s_delay_alu instid0(VALU_DEP_4) | instskip(SKIP_1) | instid1(VALU_DEP_4)
	v_fma_f64 v[22:23], v[188:189], s[20:21], -v[62:63]
	v_fma_f64 v[240:241], v[188:189], s[20:21], v[62:63]
	v_add_f64_e32 v[20:21], v[20:21], v[26:27]
	v_mul_f64_e32 v[26:27], s[28:29], v[206:207]
	v_add_f64_e32 v[24:25], v[24:25], v[68:69]
	v_add_f64_e32 v[14:15], v[22:23], v[14:15]
	;; [unrolled: 1-line block ×4, first 2 shown]
	v_fma_f64 v[22:23], v[194:195], s[2:3], v[26:27]
	v_mul_f64_e32 v[32:33], s[42:43], v[210:211]
	v_fma_f64 v[26:27], v[194:195], s[2:3], -v[26:27]
	v_add_f64_e32 v[24:25], v[30:31], v[24:25]
	s_delay_alu instid0(VALU_DEP_4) | instskip(NEXT) | instid1(VALU_DEP_4)
	v_add_f64_e32 v[22:23], v[22:23], v[66:67]
	v_fma_f64 v[34:35], v[198:199], s[14:15], v[32:33]
	s_delay_alu instid0(VALU_DEP_4) | instskip(SKIP_1) | instid1(VALU_DEP_3)
	v_add_f64_e32 v[26:27], v[26:27], v[232:233]
	v_fma_f64 v[30:31], v[198:199], s[14:15], -v[32:33]
	v_add_f64_e32 v[22:23], v[34:35], v[22:23]
	v_mul_f64_e32 v[34:35], s[40:41], v[212:213]
	s_delay_alu instid0(VALU_DEP_3) | instskip(NEXT) | instid1(VALU_DEP_2)
	v_add_f64_e32 v[26:27], v[30:31], v[26:27]
	v_fma_f64 v[58:59], v[186:187], s[20:21], -v[34:35]
	v_fma_f64 v[30:31], v[186:187], s[20:21], v[34:35]
	v_mul_f64_e32 v[34:35], s[36:37], v[206:207]
	s_delay_alu instid0(VALU_DEP_3) | instskip(SKIP_1) | instid1(VALU_DEP_4)
	v_add_f64_e32 v[20:21], v[58:59], v[20:21]
	v_mul_f64_e32 v[58:59], s[40:41], v[214:215]
	v_add_f64_e32 v[24:25], v[30:31], v[24:25]
	s_delay_alu instid0(VALU_DEP_2) | instskip(SKIP_2) | instid1(VALU_DEP_3)
	v_fma_f64 v[60:61], v[190:191], s[20:21], v[58:59]
	v_fma_f64 v[30:31], v[190:191], s[20:21], -v[58:59]
	v_mul_f64_e32 v[58:59], s[40:41], v[208:209]
	v_add_f64_e32 v[22:23], v[60:61], v[22:23]
	v_mul_f64_e32 v[60:61], s[26:27], v[220:221]
	s_delay_alu instid0(VALU_DEP_4) | instskip(NEXT) | instid1(VALU_DEP_2)
	v_add_f64_e32 v[26:27], v[30:31], v[26:27]
	v_fma_f64 v[62:63], v[180:181], s[16:17], -v[60:61]
	v_fma_f64 v[30:31], v[180:181], s[16:17], v[60:61]
	v_fma_f64 v[60:61], v[196:197], s[20:21], -v[58:59]
	s_delay_alu instid0(VALU_DEP_3) | instskip(SKIP_1) | instid1(VALU_DEP_4)
	v_add_f64_e32 v[20:21], v[62:63], v[20:21]
	v_mul_f64_e32 v[62:63], s[26:27], v[222:223]
	v_add_f64_e32 v[24:25], v[30:31], v[24:25]
	s_delay_alu instid0(VALU_DEP_2) | instskip(SKIP_1) | instid1(VALU_DEP_2)
	v_fma_f64 v[64:65], v[184:185], s[16:17], v[62:63]
	v_fma_f64 v[30:31], v[184:185], s[16:17], -v[62:63]
	v_add_f64_e32 v[22:23], v[64:65], v[22:23]
	v_mul_f64_e32 v[64:65], s[30:31], v[224:225]
	s_delay_alu instid0(VALU_DEP_3) | instskip(NEXT) | instid1(VALU_DEP_2)
	v_add_f64_e32 v[26:27], v[30:31], v[26:27]
	v_fma_f64 v[66:67], v[182:183], s[12:13], -v[64:65]
	v_fma_f64 v[30:31], v[182:183], s[12:13], v[64:65]
	s_delay_alu instid0(VALU_DEP_2) | instskip(SKIP_1) | instid1(VALU_DEP_3)
	v_add_f64_e32 v[20:21], v[66:67], v[20:21]
	v_mul_f64_e32 v[66:67], s[30:31], v[226:227]
	v_add_f64_e32 v[24:25], v[30:31], v[24:25]
	s_delay_alu instid0(VALU_DEP_2) | instskip(SKIP_1) | instid1(VALU_DEP_2)
	v_fma_f64 v[32:33], v[188:189], s[12:13], -v[66:67]
	v_fma_f64 v[240:241], v[188:189], s[12:13], v[66:67]
	v_add_f64_e32 v[26:27], v[32:33], v[26:27]
	v_mul_f64_e32 v[32:33], s[36:37], v[204:205]
	s_delay_alu instid0(VALU_DEP_3) | instskip(NEXT) | instid1(VALU_DEP_2)
	v_add_f64_e32 v[22:23], v[240:241], v[22:23]
	v_fma_f64 v[30:31], v[192:193], s[12:13], -v[32:33]
	v_fma_f64 v[32:33], v[192:193], s[12:13], v[32:33]
	s_delay_alu instid0(VALU_DEP_2) | instskip(SKIP_2) | instid1(VALU_DEP_4)
	v_add_f64_e32 v[28:29], v[30:31], v[28:29]
	v_fma_f64 v[30:31], v[194:195], s[12:13], v[34:35]
	v_fma_f64 v[34:35], v[194:195], s[12:13], -v[34:35]
	v_add_f64_e32 v[32:33], v[32:33], v[234:235]
	s_delay_alu instid0(VALU_DEP_4) | instskip(SKIP_4) | instid1(VALU_DEP_4)
	v_add_f64_e32 v[28:29], v[60:61], v[28:29]
	v_mul_f64_e32 v[60:61], s[40:41], v[210:211]
	v_add_f64_e32 v[30:31], v[30:31], v[70:71]
	v_add_f64_e32 v[34:35], v[34:35], v[56:57]
	v_fma_f64 v[56:57], v[196:197], s[20:21], v[58:59]
	v_fma_f64 v[62:63], v[198:199], s[20:21], v[60:61]
	s_delay_alu instid0(VALU_DEP_2) | instskip(SKIP_2) | instid1(VALU_DEP_4)
	v_add_f64_e32 v[32:33], v[56:57], v[32:33]
	v_fma_f64 v[56:57], v[198:199], s[20:21], -v[60:61]
	v_mul_f64_e32 v[60:61], s[38:39], v[204:205]
	v_add_f64_e32 v[30:31], v[62:63], v[30:31]
	v_mul_f64_e32 v[62:63], s[34:35], v[212:213]
	s_delay_alu instid0(VALU_DEP_4) | instskip(NEXT) | instid1(VALU_DEP_2)
	v_add_f64_e32 v[34:35], v[56:57], v[34:35]
	v_fma_f64 v[64:65], v[186:187], s[18:19], -v[62:63]
	v_fma_f64 v[56:57], v[186:187], s[18:19], v[62:63]
	v_mul_f64_e32 v[62:63], s[38:39], v[206:207]
	s_delay_alu instid0(VALU_DEP_3) | instskip(SKIP_1) | instid1(VALU_DEP_4)
	v_add_f64_e32 v[28:29], v[64:65], v[28:29]
	v_mul_f64_e32 v[64:65], s[34:35], v[214:215]
	v_add_f64_e32 v[32:33], v[56:57], v[32:33]
	s_delay_alu instid0(VALU_DEP_2) | instskip(SKIP_2) | instid1(VALU_DEP_3)
	v_fma_f64 v[66:67], v[190:191], s[18:19], v[64:65]
	v_fma_f64 v[56:57], v[190:191], s[18:19], -v[64:65]
	v_mul_f64_e32 v[64:65], s[26:27], v[208:209]
	v_add_f64_e32 v[30:31], v[66:67], v[30:31]
	v_mul_f64_e32 v[66:67], s[46:47], v[220:221]
	s_delay_alu instid0(VALU_DEP_4) | instskip(NEXT) | instid1(VALU_DEP_2)
	v_add_f64_e32 v[34:35], v[56:57], v[34:35]
	v_fma_f64 v[68:69], v[180:181], s[2:3], -v[66:67]
	v_fma_f64 v[56:57], v[180:181], s[2:3], v[66:67]
	v_fma_f64 v[66:67], v[196:197], s[16:17], -v[64:65]
	v_fma_f64 v[64:65], v[196:197], s[16:17], v[64:65]
	s_delay_alu instid0(VALU_DEP_4) | instskip(SKIP_2) | instid1(VALU_DEP_2)
	v_add_f64_e32 v[28:29], v[68:69], v[28:29]
	v_mul_f64_e32 v[68:69], s[46:47], v[222:223]
	v_add_f64_e32 v[32:33], v[56:57], v[32:33]
	v_fma_f64 v[70:71], v[184:185], s[2:3], v[68:69]
	v_fma_f64 v[56:57], v[184:185], s[2:3], -v[68:69]
	s_delay_alu instid0(VALU_DEP_2) | instskip(SKIP_1) | instid1(VALU_DEP_3)
	v_add_f64_e32 v[30:31], v[70:71], v[30:31]
	v_mul_f64_e32 v[70:71], s[44:45], v[224:225]
	v_add_f64_e32 v[34:35], v[56:57], v[34:35]
	s_delay_alu instid0(VALU_DEP_2) | instskip(SKIP_1) | instid1(VALU_DEP_2)
	v_fma_f64 v[232:233], v[182:183], s[16:17], -v[70:71]
	v_fma_f64 v[56:57], v[182:183], s[16:17], v[70:71]
	v_add_f64_e32 v[28:29], v[232:233], v[28:29]
	v_mul_f64_e32 v[232:233], s[44:45], v[226:227]
	s_delay_alu instid0(VALU_DEP_3) | instskip(SKIP_2) | instid1(VALU_DEP_4)
	v_add_f64_e32 v[32:33], v[56:57], v[32:33]
	v_fma_f64 v[56:57], v[192:193], s[18:19], -v[60:61]
	v_fma_f64 v[60:61], v[192:193], s[18:19], v[60:61]
	v_fma_f64 v[58:59], v[188:189], s[16:17], -v[232:233]
	v_fma_f64 v[240:241], v[188:189], s[16:17], v[232:233]
	s_delay_alu instid0(VALU_DEP_4) | instskip(NEXT) | instid1(VALU_DEP_4)
	v_add_f64_e32 v[56:57], v[56:57], v[236:237]
	v_add_f64_e32 v[60:61], v[60:61], v[218:219]
	s_delay_alu instid0(VALU_DEP_4) | instskip(SKIP_1) | instid1(VALU_DEP_4)
	v_add_f64_e32 v[34:35], v[58:59], v[34:35]
	v_fma_f64 v[58:59], v[194:195], s[18:19], v[62:63]
	v_add_f64_e32 v[56:57], v[66:67], v[56:57]
	v_mul_f64_e32 v[66:67], s[26:27], v[210:211]
	v_fma_f64 v[62:63], v[194:195], s[18:19], -v[62:63]
	v_add_f64_e32 v[60:61], v[64:65], v[60:61]
	v_add_f64_e32 v[30:31], v[240:241], v[30:31]
	;; [unrolled: 1-line block ×3, first 2 shown]
	v_fma_f64 v[68:69], v[198:199], s[16:17], v[66:67]
	v_add_f64_e32 v[62:63], v[62:63], v[216:217]
	v_fma_f64 v[64:65], v[198:199], s[16:17], -v[66:67]
	s_delay_alu instid0(VALU_DEP_3) | instskip(SKIP_1) | instid1(VALU_DEP_3)
	v_add_f64_e32 v[58:59], v[68:69], v[58:59]
	v_mul_f64_e32 v[68:69], s[46:47], v[212:213]
	v_add_f64_e32 v[62:63], v[64:65], v[62:63]
	s_delay_alu instid0(VALU_DEP_2) | instskip(SKIP_2) | instid1(VALU_DEP_3)
	v_fma_f64 v[70:71], v[186:187], s[2:3], -v[68:69]
	v_fma_f64 v[64:65], v[186:187], s[2:3], v[68:69]
	v_mul_f64_e32 v[68:69], s[40:41], v[204:205]
	v_add_f64_e32 v[56:57], v[70:71], v[56:57]
	v_mul_f64_e32 v[70:71], s[46:47], v[214:215]
	s_delay_alu instid0(VALU_DEP_4) | instskip(NEXT) | instid1(VALU_DEP_2)
	v_add_f64_e32 v[60:61], v[64:65], v[60:61]
	v_fma_f64 v[232:233], v[190:191], s[2:3], v[70:71]
	v_fma_f64 v[64:65], v[190:191], s[2:3], -v[70:71]
	v_mul_f64_e32 v[70:71], s[40:41], v[206:207]
	s_delay_alu instid0(VALU_DEP_3) | instskip(SKIP_1) | instid1(VALU_DEP_4)
	v_add_f64_e32 v[58:59], v[232:233], v[58:59]
	v_mul_f64_e32 v[232:233], s[40:41], v[220:221]
	v_add_f64_e32 v[62:63], v[64:65], v[62:63]
	s_delay_alu instid0(VALU_DEP_2) | instskip(SKIP_2) | instid1(VALU_DEP_3)
	v_fma_f64 v[234:235], v[180:181], s[20:21], -v[232:233]
	v_fma_f64 v[64:65], v[180:181], s[20:21], v[232:233]
	v_add_f64_e64 v[232:233], v[72:73], -v[50:51]
	v_add_f64_e32 v[56:57], v[234:235], v[56:57]
	v_mul_f64_e32 v[234:235], s[40:41], v[222:223]
	s_delay_alu instid0(VALU_DEP_4) | instskip(NEXT) | instid1(VALU_DEP_2)
	v_add_f64_e32 v[60:61], v[64:65], v[60:61]
	v_fma_f64 v[236:237], v[184:185], s[20:21], v[234:235]
	v_fma_f64 v[64:65], v[184:185], s[20:21], -v[234:235]
	s_delay_alu instid0(VALU_DEP_2) | instskip(SKIP_1) | instid1(VALU_DEP_3)
	v_add_f64_e32 v[58:59], v[236:237], v[58:59]
	v_mul_f64_e32 v[236:237], s[24:25], v[224:225]
	v_add_f64_e32 v[62:63], v[64:65], v[62:63]
	s_delay_alu instid0(VALU_DEP_2) | instskip(SKIP_2) | instid1(VALU_DEP_3)
	v_fma_f64 v[238:239], v[182:183], s[14:15], -v[236:237]
	v_fma_f64 v[64:65], v[182:183], s[14:15], v[236:237]
	v_add_f64_e64 v[236:237], v[80:81], -v[40:41]
	v_add_f64_e32 v[56:57], v[238:239], v[56:57]
	v_mul_f64_e32 v[238:239], s[24:25], v[226:227]
	s_delay_alu instid0(VALU_DEP_4) | instskip(SKIP_2) | instid1(VALU_DEP_4)
	v_add_f64_e32 v[60:61], v[64:65], v[60:61]
	v_fma_f64 v[64:65], v[192:193], s[20:21], -v[68:69]
	v_fma_f64 v[68:69], v[192:193], s[20:21], v[68:69]
	v_fma_f64 v[66:67], v[188:189], s[14:15], -v[238:239]
	v_fma_f64 v[240:241], v[188:189], s[14:15], v[238:239]
	s_delay_alu instid0(VALU_DEP_4) | instskip(NEXT) | instid1(VALU_DEP_4)
	v_add_f64_e32 v[64:65], v[64:65], v[202:203]
	v_add_f64_e32 v[68:69], v[68:69], v[148:149]
	v_add_f64_e64 v[238:239], v[84:85], -v[98:99]
	v_add_f64_e32 v[62:63], v[66:67], v[62:63]
	v_fma_f64 v[66:67], v[194:195], s[20:21], v[70:71]
	v_fma_f64 v[70:71], v[194:195], s[20:21], -v[70:71]
	v_add_f64_e32 v[58:59], v[240:241], v[58:59]
	v_add_f64_e64 v[240:241], v[96:97], -v[38:39]
	s_delay_alu instid0(VALU_DEP_4) | instskip(SKIP_2) | instid1(VALU_DEP_2)
	v_add_f64_e32 v[66:67], v[66:67], v[200:201]
	v_mul_f64_e32 v[200:201], s[30:31], v[208:209]
	v_add_f64_e32 v[54:55], v[70:71], v[54:55]
	v_fma_f64 v[202:203], v[196:197], s[12:13], -v[200:201]
	v_fma_f64 v[192:193], v[196:197], s[12:13], v[200:201]
	s_delay_alu instid0(VALU_DEP_2) | instskip(SKIP_1) | instid1(VALU_DEP_3)
	v_add_f64_e32 v[64:65], v[202:203], v[64:65]
	v_mul_f64_e32 v[202:203], s[30:31], v[210:211]
	v_add_f64_e32 v[68:69], v[192:193], v[68:69]
	s_delay_alu instid0(VALU_DEP_2) | instskip(SKIP_1) | instid1(VALU_DEP_2)
	v_fma_f64 v[204:205], v[198:199], s[12:13], v[202:203]
	v_fma_f64 v[194:195], v[198:199], s[12:13], -v[202:203]
	v_add_f64_e32 v[66:67], v[204:205], v[66:67]
	v_mul_f64_e32 v[204:205], s[44:45], v[212:213]
	s_delay_alu instid0(VALU_DEP_3) | instskip(NEXT) | instid1(VALU_DEP_2)
	v_add_f64_e32 v[54:55], v[194:195], v[54:55]
	v_fma_f64 v[206:207], v[186:187], s[16:17], -v[204:205]
	v_fma_f64 v[70:71], v[186:187], s[16:17], v[204:205]
	s_delay_alu instid0(VALU_DEP_2) | instskip(SKIP_2) | instid1(VALU_DEP_4)
	v_add_f64_e32 v[64:65], v[206:207], v[64:65]
	v_mul_f64_e32 v[206:207], s[44:45], v[214:215]
	v_mul_f64_e32 v[214:215], s[38:39], v[226:227]
	v_add_f64_e32 v[68:69], v[70:71], v[68:69]
	s_delay_alu instid0(VALU_DEP_3) | instskip(SKIP_1) | instid1(VALU_DEP_2)
	v_fma_f64 v[208:209], v[190:191], s[16:17], v[206:207]
	v_fma_f64 v[148:149], v[190:191], s[16:17], -v[206:207]
	v_add_f64_e32 v[66:67], v[208:209], v[66:67]
	v_mul_f64_e32 v[208:209], s[24:25], v[220:221]
	s_delay_alu instid0(VALU_DEP_3) | instskip(SKIP_2) | instid1(VALU_DEP_4)
	v_add_f64_e32 v[54:55], v[148:149], v[54:55]
	v_fma_f64 v[148:149], v[188:189], s[18:19], -v[214:215]
	v_add_f64_e64 v[220:221], v[74:75], -v[102:103]
	v_fma_f64 v[210:211], v[180:181], s[14:15], -v[208:209]
	v_fma_f64 v[180:181], v[180:181], s[14:15], v[208:209]
	s_delay_alu instid0(VALU_DEP_3) | instskip(SKIP_1) | instid1(VALU_DEP_4)
	v_mul_f64_e32 v[200:201], s[34:35], v[220:221]
	v_mul_f64_e32 v[150:151], s[28:29], v[220:221]
	v_add_f64_e32 v[64:65], v[210:211], v[64:65]
	v_mul_f64_e32 v[210:211], s[24:25], v[222:223]
	v_add_f64_e32 v[68:69], v[180:181], v[68:69]
	v_mul_f64_e32 v[180:181], s[26:27], v[232:233]
	s_delay_alu instid0(VALU_DEP_3) | instskip(SKIP_1) | instid1(VALU_DEP_2)
	v_fma_f64 v[212:213], v[184:185], s[14:15], v[210:211]
	v_fma_f64 v[184:185], v[184:185], s[14:15], -v[210:211]
	v_add_f64_e32 v[66:67], v[212:213], v[66:67]
	v_mul_f64_e32 v[212:213], s[38:39], v[224:225]
	s_delay_alu instid0(VALU_DEP_3) | instskip(NEXT) | instid1(VALU_DEP_2)
	v_add_f64_e32 v[54:55], v[184:185], v[54:55]
	v_fma_f64 v[70:71], v[182:183], s[18:19], v[212:213]
	v_fma_f64 v[216:217], v[182:183], s[18:19], -v[212:213]
	s_delay_alu instid0(VALU_DEP_2) | instskip(NEXT) | instid1(VALU_DEP_4)
	v_add_f64_e32 v[68:69], v[70:71], v[68:69]
	v_add_f64_e32 v[70:71], v[148:149], v[54:55]
	v_fma_f64 v[54:55], v[246:247], s[20:21], v[248:249]
	s_delay_alu instid0(VALU_DEP_4) | instskip(SKIP_2) | instid1(VALU_DEP_4)
	v_add_f64_e32 v[64:65], v[216:217], v[64:65]
	v_fma_f64 v[216:217], v[188:189], s[18:19], v[214:215]
	v_add_f64_e64 v[214:215], v[46:47], -v[42:43]
	v_add_f64_e32 v[148:149], v[0:1], v[54:55]
	v_add_f64_e32 v[54:55], v[46:47], v[42:43]
	v_mov_b32_e32 v42, v78
	s_delay_alu instid0(VALU_DEP_4) | instskip(SKIP_3) | instid1(VALU_DEP_3)
	v_mul_f64_e32 v[184:185], s[26:27], v[214:215]
	v_mov_b32_e32 v43, v79
	v_add_f64_e32 v[66:67], v[216:217], v[66:67]
	v_mul_f64_e32 v[88:89], s[24:25], v[214:215]
	v_add_f64_e64 v[234:235], v[76:77], -v[42:43]
	v_add_f64_e32 v[198:199], v[76:77], v[42:43]
	v_fma_f64 v[182:183], v[54:55], s[16:17], v[180:181]
	s_delay_alu instid0(VALU_DEP_3) | instskip(NEXT) | instid1(VALU_DEP_2)
	v_mul_f64_e32 v[90:91], s[28:29], v[234:235]
	v_add_f64_e32 v[190:191], v[182:183], v[148:149]
	v_add_f64_e64 v[148:149], v[252:253], -v[254:255]
	v_add_f64_e32 v[252:253], v[104:105], v[52:53]
	s_delay_alu instid0(VALU_DEP_2) | instskip(SKIP_1) | instid1(VALU_DEP_2)
	v_mul_f64_e32 v[254:255], s[22:23], v[148:149]
	v_mul_f64_e32 v[158:159], s[26:27], v[148:149]
	v_fma_f64 v[182:183], v[252:253], s[20:21], -v[254:255]
	s_delay_alu instid0(VALU_DEP_1) | instskip(SKIP_1) | instid1(VALU_DEP_1)
	v_add_f64_e32 v[186:187], v[2:3], v[182:183]
	v_add_f64_e32 v[182:183], v[72:73], v[50:51]
	v_fma_f64 v[188:189], v[182:183], s[16:17], -v[184:185]
	s_delay_alu instid0(VALU_DEP_1)
	v_add_f64_e32 v[192:193], v[188:189], v[186:187]
	v_add_f64_e32 v[186:187], v[74:75], v[102:103]
	s_clause 0x1
	scratch_load_b64 v[74:75], off, off offset:472
	scratch_load_b64 v[78:79], off, off offset:480
	v_mul_f64_e32 v[188:189], s[34:35], v[234:235]
	s_clause 0x4
	scratch_store_b64 off, v[100:101], off offset:608
	scratch_store_b64 off, v[36:37], off offset:576
	;; [unrolled: 1-line block ×5, first 2 shown]
	v_fma_f64 v[194:195], v[186:187], s[18:19], v[188:189]
	s_delay_alu instid0(VALU_DEP_1) | instskip(SKIP_1) | instid1(VALU_DEP_1)
	v_add_f64_e32 v[194:195], v[194:195], v[190:191]
	v_fma_f64 v[190:191], v[198:199], s[18:19], -v[200:201]
	v_add_f64_e32 v[196:197], v[190:191], v[192:193]
	v_mul_f64_e32 v[192:193], s[24:25], v[236:237]
	s_wait_loadcnt 0x1
	v_add_f64_e32 v[190:191], v[74:75], v[100:101]
	v_add_f64_e64 v[222:223], v[74:75], -v[100:101]
	s_wait_loadcnt 0x0
	v_add_f64_e64 v[224:225], v[78:79], -v[36:37]
	s_delay_alu instid0(VALU_DEP_3) | instskip(NEXT) | instid1(VALU_DEP_3)
	v_fma_f64 v[202:203], v[190:191], s[14:15], v[192:193]
	v_mul_f64_e32 v[204:205], s[24:25], v[222:223]
	s_delay_alu instid0(VALU_DEP_3) | instskip(NEXT) | instid1(VALU_DEP_3)
	v_mul_f64_e32 v[212:213], s[30:31], v[224:225]
	v_add_f64_e32 v[206:207], v[202:203], v[194:195]
	v_add_f64_e32 v[202:203], v[80:81], v[40:41]
	s_delay_alu instid0(VALU_DEP_1) | instskip(NEXT) | instid1(VALU_DEP_1)
	v_fma_f64 v[194:195], v[202:203], s[14:15], -v[204:205]
	v_add_f64_e32 v[208:209], v[194:195], v[196:197]
	v_add_f64_e32 v[194:195], v[78:79], v[36:37]
	v_mul_f64_e32 v[196:197], s[30:31], v[238:239]
	s_delay_alu instid0(VALU_DEP_1) | instskip(NEXT) | instid1(VALU_DEP_1)
	v_fma_f64 v[210:211], v[194:195], s[12:13], v[196:197]
	v_add_f64_e32 v[216:217], v[210:211], v[206:207]
	v_add_f64_e32 v[210:211], v[84:85], v[98:99]
	scratch_load_b64 v[98:99], off, off offset:464 ; 8-byte Folded Reload
	v_fma_f64 v[206:207], v[210:211], s[12:13], -v[212:213]
	s_delay_alu instid0(VALU_DEP_1) | instskip(SKIP_4) | instid1(VALU_DEP_2)
	v_add_f64_e32 v[46:47], v[206:207], v[208:209]
	v_mul_f64_e32 v[208:209], s[28:29], v[240:241]
	s_wait_loadcnt 0x0
	v_add_f64_e32 v[206:207], v[82:83], v[98:99]
	v_add_f64_e64 v[226:227], v[82:83], -v[98:99]
	v_fma_f64 v[218:219], v[206:207], s[2:3], v[208:209]
	s_delay_alu instid0(VALU_DEP_2) | instskip(NEXT) | instid1(VALU_DEP_2)
	v_mul_f64_e32 v[152:153], s[40:41], v[226:227]
	v_add_f64_e32 v[36:37], v[218:219], v[216:217]
	v_add_f64_e32 v[216:217], v[96:97], v[38:39]
	v_mul_f64_e32 v[218:219], s[28:29], v[226:227]
	v_dual_mov_b32 v97, v39 :: v_dual_mov_b32 v96, v38
	s_delay_alu instid0(VALU_DEP_2) | instskip(NEXT) | instid1(VALU_DEP_1)
	v_fma_f64 v[72:73], v[216:217], s[2:3], -v[218:219]
	v_add_f64_e32 v[38:39], v[72:73], v[46:47]
	v_add_f64_e32 v[46:47], v[244:245], v[94:95]
	v_fma_f64 v[72:73], v[182:183], s[14:15], -v[88:89]
	v_mul_f64_e32 v[94:95], s[36:37], v[236:237]
	s_clause 0x1
	scratch_store_b64 off, v[82:83], off offset:528
	scratch_store_b128 off, v[36:39], off offset:8
	v_add_f64_e32 v[46:47], v[46:47], v[154:155]
	v_mul_f64_e32 v[154:155], s[38:39], v[224:225]
	s_delay_alu instid0(VALU_DEP_2) | instskip(SKIP_2) | instid1(VALU_DEP_3)
	v_add_f64_e32 v[46:47], v[46:47], v[160:161]
	v_add_f64_e32 v[160:161], v[44:45], v[146:147]
	v_mul_f64_e32 v[146:147], s[36:37], v[222:223]
	v_add_f64_e32 v[46:47], v[46:47], v[166:167]
	s_delay_alu instid0(VALU_DEP_1) | instskip(NEXT) | instid1(VALU_DEP_1)
	v_add_f64_e32 v[46:47], v[46:47], v[170:171]
	v_add_f64_e32 v[46:47], v[46:47], v[174:175]
	s_delay_alu instid0(VALU_DEP_1) | instskip(NEXT) | instid1(VALU_DEP_1)
	v_add_f64_e32 v[46:47], v[46:47], v[178:179]
	v_add_f64_e32 v[46:47], v[46:47], v[156:157]
	v_mul_f64_e32 v[156:157], s[26:27], v[250:251]
	s_delay_alu instid0(VALU_DEP_2) | instskip(NEXT) | instid1(VALU_DEP_2)
	v_add_f64_e32 v[46:47], v[46:47], v[86:87]
	v_fma_f64 v[44:45], v[246:247], s[16:17], v[156:157]
	v_mul_f64_e32 v[86:87], s[24:25], v[232:233]
	s_delay_alu instid0(VALU_DEP_3) | instskip(NEXT) | instid1(VALU_DEP_3)
	v_add_f64_e32 v[46:47], v[46:47], v[92:93]
	v_add_f64_e32 v[44:45], v[0:1], v[44:45]
	v_mul_f64_e32 v[92:93], s[40:41], v[240:241]
	s_delay_alu instid0(VALU_DEP_3) | instskip(SKIP_2) | instid1(VALU_DEP_2)
	v_add_f64_e32 v[162:163], v[46:47], v[144:145]
	v_fma_f64 v[46:47], v[54:55], s[14:15], v[86:87]
	v_mul_f64_e32 v[144:145], s[38:39], v[238:239]
	v_add_f64_e32 v[44:45], v[46:47], v[44:45]
	v_fma_f64 v[46:47], v[252:253], s[16:17], -v[158:159]
	s_delay_alu instid0(VALU_DEP_1) | instskip(NEXT) | instid1(VALU_DEP_1)
	v_add_f64_e32 v[46:47], v[2:3], v[46:47]
	v_add_f64_e32 v[46:47], v[72:73], v[46:47]
	v_fma_f64 v[72:73], v[186:187], s[2:3], v[90:91]
	s_delay_alu instid0(VALU_DEP_1) | instskip(SKIP_1) | instid1(VALU_DEP_1)
	v_add_f64_e32 v[44:45], v[72:73], v[44:45]
	v_fma_f64 v[72:73], v[198:199], s[2:3], -v[150:151]
	v_add_f64_e32 v[46:47], v[72:73], v[46:47]
	v_fma_f64 v[72:73], v[190:191], s[12:13], v[94:95]
	s_delay_alu instid0(VALU_DEP_1) | instskip(SKIP_1) | instid1(VALU_DEP_1)
	v_add_f64_e32 v[44:45], v[72:73], v[44:45]
	v_fma_f64 v[72:73], v[202:203], s[12:13], -v[146:147]
	;; [unrolled: 5-line block ×4, first 2 shown]
	v_add_f64_e32 v[38:39], v[44:45], v[46:47]
	v_lshrrev_b32_e32 v44, 2, v243
	s_delay_alu instid0(VALU_DEP_1)
	v_mul_u32_u24_e32 v44, 52, v44
	scratch_store_b128 off, v[36:39], off offset:24 ; 16-byte Folded Spill
	scratch_load_b32 v36, off, off offset:4 ; 4-byte Folded Reload
	global_wb scope:SCOPE_SE
	s_wait_loadcnt 0x0
	s_wait_storecnt 0x0
	s_barrier_signal -1
	s_barrier_wait -1
	global_inv scope:SCOPE_SE
	v_or_b32_e32 v44, v44, v36
	s_delay_alu instid0(VALU_DEP_1)
	v_lshlrev_b32_e32 v243, 4, v44
	ds_store_b128 v243, v[16:19] offset:128
	ds_store_b128 v243, v[20:23] offset:192
	;; [unrolled: 1-line block ×12, first 2 shown]
	ds_store_b128 v243, v[160:163]
	scratch_load_b32 v4, off, off offset:436 th:TH_LOAD_LU ; 4-byte Folded Reload
	s_wait_loadcnt 0x0
	v_lshrrev_b32_e32 v4, 2, v4
	scratch_store_b32 off, v4, off offset:436 ; 4-byte Folded Spill
	s_and_saveexec_b32 s33, vcc_lo
	s_cbranch_execz .LBB0_5
; %bb.4:
	v_mul_f64_e32 v[8:9], s[12:13], v[252:253]
	v_mul_f64_e32 v[4:5], s[2:3], v[252:253]
	;; [unrolled: 1-line block ×12, first 2 shown]
	v_add_f64_e32 v[62:63], v[0:1], v[48:49]
	v_add_f64_e32 v[60:61], v[2:3], v[106:107]
	v_mul_f64_e32 v[160:161], s[12:13], v[182:183]
	v_mul_f64_e32 v[174:175], s[44:45], v[240:241]
	;; [unrolled: 1-line block ×3, first 2 shown]
	s_clause 0x1
	scratch_load_b64 v[36:37], off, off offset:496 th:TH_LOAD_LU
	scratch_load_b64 v[38:39], off, off offset:592 th:TH_LOAD_LU
	v_fma_f64 v[10:11], v[148:149], s[36:37], v[8:9]
	v_fma_f64 v[8:9], v[148:149], s[30:31], v[8:9]
	;; [unrolled: 1-line block ×6, first 2 shown]
	v_add_f64_e32 v[20:21], v[158:159], v[20:21]
	v_add_f64_e64 v[22:23], v[22:23], -v[156:157]
	v_fma_f64 v[34:35], v[246:247], s[2:3], v[26:27]
	v_fma_f64 v[26:27], v[246:247], s[2:3], -v[26:27]
	v_fma_f64 v[44:45], v[246:247], s[12:13], v[28:29]
	v_fma_f64 v[28:29], v[246:247], s[12:13], -v[28:29]
	;; [unrolled: 2-line block ×4, first 2 shown]
	v_add_f64_e64 v[58:59], v[58:59], -v[248:249]
	v_fma_f64 v[4:5], v[148:149], s[28:29], v[4:5]
	v_fma_f64 v[16:17], v[148:149], s[34:35], v[16:17]
	v_add_f64_e32 v[24:25], v[254:255], v[24:25]
	v_mul_f64_e32 v[148:149], s[18:19], v[216:217]
	v_mul_f64_e32 v[156:157], s[38:39], v[240:241]
	;; [unrolled: 1-line block ×3, first 2 shown]
	v_add_f64_e32 v[10:11], v[2:3], v[10:11]
	v_add_f64_e32 v[64:65], v[2:3], v[8:9]
	v_mul_f64_e32 v[8:9], s[20:21], v[182:183]
	v_add_f64_e32 v[6:7], v[2:3], v[6:7]
	v_add_f64_e32 v[66:67], v[2:3], v[14:15]
	;; [unrolled: 1-line block ×15, first 2 shown]
	v_mul_f64_e32 v[20:21], s[12:13], v[198:199]
	v_add_f64_e32 v[4:5], v[2:3], v[4:5]
	v_add_f64_e32 v[16:17], v[2:3], v[16:17]
	;; [unrolled: 1-line block ×3, first 2 shown]
	v_fma_f64 v[0:1], v[214:215], s[22:23], v[8:9]
	v_fma_f64 v[8:9], v[214:215], s[40:41], v[8:9]
	;; [unrolled: 1-line block ×3, first 2 shown]
	s_delay_alu instid0(VALU_DEP_3) | instskip(SKIP_1) | instid1(VALU_DEP_4)
	v_add_f64_e32 v[0:1], v[0:1], v[6:7]
	v_mul_f64_e32 v[6:7], s[40:41], v[232:233]
	v_add_f64_e32 v[4:5], v[8:9], v[4:5]
	v_fma_f64 v[8:9], v[220:221], s[30:31], v[20:21]
	v_fma_f64 v[20:21], v[206:207], s[18:19], -v[156:157]
	v_add_f64_e32 v[0:1], v[22:23], v[0:1]
	v_fma_f64 v[2:3], v[54:55], s[20:21], v[6:7]
	v_mul_f64_e32 v[22:23], s[30:31], v[234:235]
	v_fma_f64 v[6:7], v[54:55], s[20:21], -v[6:7]
	v_add_f64_e32 v[4:5], v[8:9], v[4:5]
	s_delay_alu instid0(VALU_DEP_4) | instskip(NEXT) | instid1(VALU_DEP_4)
	v_add_f64_e32 v[2:3], v[2:3], v[34:35]
	v_fma_f64 v[24:25], v[186:187], s[12:13], v[22:23]
	s_delay_alu instid0(VALU_DEP_4)
	v_add_f64_e32 v[6:7], v[6:7], v[26:27]
	v_fma_f64 v[8:9], v[186:187], s[12:13], -v[22:23]
	v_mul_f64_e32 v[26:27], s[38:39], v[232:233]
	v_mul_f64_e32 v[22:23], s[14:15], v[182:183]
	v_add_f64_e32 v[2:3], v[24:25], v[2:3]
	v_mul_f64_e32 v[24:25], s[16:17], v[202:203]
	v_add_f64_e32 v[6:7], v[8:9], v[6:7]
	s_delay_alu instid0(VALU_DEP_4) | instskip(SKIP_1) | instid1(VALU_DEP_4)
	v_add_f64_e32 v[22:23], v[88:89], v[22:23]
	v_mul_f64_e32 v[88:89], s[2:3], v[186:187]
	v_fma_f64 v[32:33], v[222:223], s[26:27], v[24:25]
	v_fma_f64 v[8:9], v[222:223], s[44:45], v[24:25]
	v_mul_f64_e32 v[24:25], s[18:19], v[182:183]
	v_add_f64_e32 v[12:13], v[22:23], v[12:13]
	v_add_f64_e64 v[88:89], v[88:89], -v[90:91]
	v_mul_f64_e32 v[90:91], s[14:15], v[54:55]
	v_mul_f64_e32 v[22:23], s[18:19], v[194:195]
	v_add_f64_e32 v[0:1], v[32:33], v[0:1]
	v_mul_f64_e32 v[32:33], s[44:45], v[236:237]
	v_add_f64_e32 v[4:5], v[8:9], v[4:5]
	v_add_f64_e64 v[86:87], v[90:91], -v[86:87]
	v_mul_f64_e32 v[90:91], s[12:13], v[202:203]
	v_add_f64_e64 v[22:23], v[22:23], -v[144:145]
	v_mul_f64_e32 v[144:145], s[40:41], v[236:237]
	v_fma_f64 v[34:35], v[190:191], s[16:17], v[32:33]
	v_fma_f64 v[8:9], v[190:191], s[16:17], -v[32:33]
	v_mul_f64_e32 v[32:33], s[16:17], v[198:199]
	v_add_f64_e32 v[14:15], v[86:87], v[14:15]
	v_add_f64_e32 v[90:91], v[146:147], v[90:91]
	v_mul_f64_e32 v[146:147], s[12:13], v[190:191]
	v_mul_f64_e32 v[86:87], s[20:21], v[206:207]
	v_add_f64_e32 v[2:3], v[34:35], v[2:3]
	v_mul_f64_e32 v[34:35], s[14:15], v[210:211]
	v_add_f64_e32 v[6:7], v[8:9], v[6:7]
	v_add_f64_e32 v[14:15], v[88:89], v[14:15]
	v_mul_f64_e32 v[88:89], s[28:29], v[232:233]
	v_add_f64_e64 v[94:95], v[146:147], -v[94:95]
	v_mul_f64_e32 v[146:147], s[18:19], v[210:211]
	v_add_f64_e64 v[86:87], v[86:87], -v[92:93]
	v_mul_f64_e32 v[92:93], s[42:43], v[234:235]
	v_fma_f64 v[82:83], v[224:225], s[42:43], v[34:35]
	v_fma_f64 v[8:9], v[224:225], s[24:25], v[34:35]
	v_mul_f64_e32 v[34:35], s[26:27], v[234:235]
	v_add_f64_e32 v[14:15], v[94:95], v[14:15]
	v_add_f64_e32 v[146:147], v[154:155], v[146:147]
	v_mul_f64_e32 v[94:95], s[20:21], v[202:203]
	v_mul_f64_e32 v[154:155], s[30:31], v[240:241]
	v_add_f64_e32 v[0:1], v[82:83], v[0:1]
	v_mul_f64_e32 v[82:83], s[24:25], v[238:239]
	v_add_f64_e32 v[4:5], v[8:9], v[4:5]
	v_add_f64_e32 v[22:23], v[22:23], v[14:15]
	s_delay_alu instid0(VALU_DEP_3) | instskip(SKIP_2) | instid1(VALU_DEP_3)
	v_fma_f64 v[8:9], v[194:195], s[14:15], -v[82:83]
	v_fma_f64 v[84:85], v[194:195], s[14:15], v[82:83]
	v_mul_f64_e32 v[82:83], s[46:47], v[236:237]
	v_add_f64_e32 v[8:9], v[8:9], v[6:7]
	v_fma_f64 v[6:7], v[226:227], s[38:39], v[148:149]
	s_delay_alu instid0(VALU_DEP_4) | instskip(SKIP_2) | instid1(VALU_DEP_4)
	v_add_f64_e32 v[84:85], v[84:85], v[2:3]
	v_fma_f64 v[2:3], v[226:227], s[34:35], v[148:149]
	v_mul_f64_e32 v[148:149], s[40:41], v[238:239]
	v_add_f64_e32 v[6:7], v[6:7], v[4:5]
	v_add_f64_e32 v[4:5], v[20:21], v[8:9]
	v_fma_f64 v[8:9], v[214:215], s[34:35], v[24:25]
	v_fma_f64 v[20:21], v[220:221], s[44:45], v[32:33]
	v_add_f64_e32 v[2:3], v[2:3], v[0:1]
	v_fma_f64 v[0:1], v[206:207], s[18:19], v[156:157]
	v_mul_f64_e32 v[156:157], s[14:15], v[216:217]
	v_fma_f64 v[24:25], v[214:215], s[38:39], v[24:25]
	v_add_f64_e32 v[8:9], v[8:9], v[10:11]
	v_fma_f64 v[10:11], v[54:55], s[18:19], v[26:27]
	v_fma_f64 v[26:27], v[54:55], s[18:19], -v[26:27]
	v_add_f64_e32 v[0:1], v[0:1], v[84:85]
	v_mul_f64_e32 v[84:85], s[20:21], v[210:211]
	v_add_f64_e32 v[24:25], v[24:25], v[64:65]
	v_mul_f64_e32 v[64:65], s[14:15], v[190:191]
	v_add_f64_e32 v[8:9], v[20:21], v[8:9]
	v_add_f64_e32 v[10:11], v[10:11], v[44:45]
	v_fma_f64 v[20:21], v[186:187], s[16:17], v[34:35]
	v_mul_f64_e32 v[44:45], s[2:3], v[202:203]
	v_add_f64_e32 v[26:27], v[26:27], v[28:29]
	v_fma_f64 v[28:29], v[220:221], s[26:27], v[32:33]
	v_fma_f64 v[32:33], v[206:207], s[14:15], -v[158:159]
	v_add_f64_e64 v[64:65], v[64:65], -v[192:193]
	v_add_f64_e32 v[10:11], v[20:21], v[10:11]
	v_fma_f64 v[20:21], v[222:223], s[28:29], v[44:45]
	v_add_f64_e32 v[24:25], v[28:29], v[24:25]
	v_fma_f64 v[28:29], v[186:187], s[16:17], -v[34:35]
	v_fma_f64 v[34:35], v[206:207], s[16:17], v[174:175]
	s_delay_alu instid0(VALU_DEP_4) | instskip(SKIP_1) | instid1(VALU_DEP_4)
	v_add_f64_e32 v[8:9], v[20:21], v[8:9]
	v_fma_f64 v[20:21], v[190:191], s[2:3], v[82:83]
	v_add_f64_e32 v[26:27], v[28:29], v[26:27]
	v_fma_f64 v[28:29], v[222:223], s[46:47], v[44:45]
	v_fma_f64 v[44:45], v[54:55], s[2:3], v[88:89]
	s_delay_alu instid0(VALU_DEP_4) | instskip(SKIP_1) | instid1(VALU_DEP_4)
	v_add_f64_e32 v[10:11], v[20:21], v[10:11]
	v_fma_f64 v[20:21], v[224:225], s[22:23], v[84:85]
	v_add_f64_e32 v[24:25], v[28:29], v[24:25]
	v_fma_f64 v[28:29], v[190:191], s[2:3], -v[82:83]
	v_add_f64_e32 v[44:45], v[44:45], v[56:57]
	v_fma_f64 v[56:57], v[206:207], s[12:13], v[154:155]
	v_add_f64_e32 v[8:9], v[20:21], v[8:9]
	v_fma_f64 v[20:21], v[194:195], s[20:21], v[148:149]
	;; [unrolled: 2-line block ×3, first 2 shown]
	s_delay_alu instid0(VALU_DEP_3) | instskip(SKIP_1) | instid1(VALU_DEP_3)
	v_add_f64_e32 v[20:21], v[20:21], v[10:11]
	v_fma_f64 v[10:11], v[226:227], s[42:43], v[156:157]
	v_add_f64_e32 v[24:25], v[28:29], v[24:25]
	v_fma_f64 v[28:29], v[194:195], s[20:21], -v[148:149]
	s_delay_alu instid0(VALU_DEP_3) | instskip(SKIP_1) | instid1(VALU_DEP_3)
	v_add_f64_e32 v[10:11], v[10:11], v[8:9]
	v_fma_f64 v[8:9], v[206:207], s[14:15], v[158:159]
	v_add_f64_e32 v[28:29], v[28:29], v[26:27]
	v_fma_f64 v[26:27], v[226:227], s[24:25], v[156:157]
	s_delay_alu instid0(VALU_DEP_3) | instskip(SKIP_1) | instid1(VALU_DEP_3)
	v_add_f64_e32 v[8:9], v[8:9], v[20:21]
	v_mul_f64_e32 v[20:21], s[2:3], v[198:199]
	v_add_f64_e32 v[26:27], v[26:27], v[24:25]
	v_add_f64_e32 v[24:25], v[32:33], v[28:29]
	v_fma_f64 v[28:29], v[214:215], s[30:31], v[160:161]
	s_delay_alu instid0(VALU_DEP_4) | instskip(SKIP_1) | instid1(VALU_DEP_3)
	v_add_f64_e32 v[20:21], v[150:151], v[20:21]
	v_mul_f64_e32 v[150:151], s[26:27], v[238:239]
	v_add_f64_e32 v[28:29], v[28:29], v[66:67]
	s_delay_alu instid0(VALU_DEP_3) | instskip(SKIP_1) | instid1(VALU_DEP_2)
	v_add_f64_e32 v[12:13], v[20:21], v[12:13]
	v_mul_f64_e32 v[20:21], s[20:21], v[216:217]
	v_add_f64_e32 v[12:13], v[90:91], v[12:13]
	s_delay_alu instid0(VALU_DEP_2) | instskip(SKIP_2) | instid1(VALU_DEP_4)
	v_add_f64_e32 v[20:21], v[152:153], v[20:21]
	v_mul_f64_e32 v[90:91], s[14:15], v[198:199]
	v_mul_f64_e32 v[152:153], s[12:13], v[216:217]
	v_add_f64_e32 v[12:13], v[146:147], v[12:13]
	v_mul_f64_e32 v[146:147], s[16:17], v[210:211]
	s_delay_alu instid0(VALU_DEP_2) | instskip(SKIP_2) | instid1(VALU_DEP_1)
	v_add_f64_e32 v[14:15], v[20:21], v[12:13]
	v_add_f64_e32 v[12:13], v[86:87], v[22:23]
	v_mul_f64_e32 v[86:87], s[2:3], v[182:183]
	v_fma_f64 v[20:21], v[214:215], s[28:29], v[86:87]
	s_delay_alu instid0(VALU_DEP_1) | instskip(SKIP_1) | instid1(VALU_DEP_1)
	v_add_f64_e32 v[16:17], v[20:21], v[16:17]
	v_fma_f64 v[20:21], v[54:55], s[2:3], -v[88:89]
	v_add_f64_e32 v[18:19], v[20:21], v[18:19]
	v_fma_f64 v[20:21], v[220:221], s[42:43], v[90:91]
	s_delay_alu instid0(VALU_DEP_1) | instskip(SKIP_1) | instid1(VALU_DEP_1)
	v_add_f64_e32 v[16:17], v[20:21], v[16:17]
	v_fma_f64 v[20:21], v[186:187], s[14:15], -v[92:93]
	v_add_f64_e32 v[18:19], v[20:21], v[18:19]
	;; [unrolled: 5-line block ×5, first 2 shown]
	v_fma_f64 v[20:21], v[214:215], s[36:37], v[160:161]
	s_delay_alu instid0(VALU_DEP_1) | instskip(SKIP_1) | instid1(VALU_DEP_1)
	v_add_f64_e32 v[20:21], v[20:21], v[68:69]
	v_mul_f64_e32 v[68:69], s[36:37], v[232:233]
	v_fma_f64 v[22:23], v[54:55], s[12:13], -v[68:69]
	v_fma_f64 v[32:33], v[54:55], s[12:13], v[68:69]
	v_mul_f64_e32 v[54:55], s[16:17], v[54:55]
	s_delay_alu instid0(VALU_DEP_3) | instskip(SKIP_1) | instid1(VALU_DEP_4)
	v_add_f64_e32 v[22:23], v[22:23], v[30:31]
	v_mul_f64_e32 v[30:31], s[20:21], v[198:199]
	v_add_f64_e32 v[32:33], v[32:33], v[46:47]
	v_fma_f64 v[46:47], v[222:223], s[22:23], v[94:95]
	v_add_f64_e64 v[54:55], v[54:55], -v[180:181]
	s_delay_alu instid0(VALU_DEP_4) | instskip(SKIP_1) | instid1(VALU_DEP_3)
	v_fma_f64 v[162:163], v[220:221], s[40:41], v[30:31]
	v_fma_f64 v[30:31], v[220:221], s[22:23], v[30:31]
	v_add_f64_e32 v[54:55], v[54:55], v[58:59]
	v_mul_f64_e32 v[58:59], s[14:15], v[202:203]
	s_delay_alu instid0(VALU_DEP_4) | instskip(SKIP_2) | instid1(VALU_DEP_4)
	v_add_f64_e32 v[20:21], v[162:163], v[20:21]
	v_mul_f64_e32 v[162:163], s[40:41], v[234:235]
	v_add_f64_e32 v[28:29], v[30:31], v[28:29]
	v_add_f64_e32 v[58:59], v[204:205], v[58:59]
	s_delay_alu instid0(VALU_DEP_3) | instskip(SKIP_1) | instid1(VALU_DEP_2)
	v_fma_f64 v[164:165], v[186:187], s[20:21], -v[162:163]
	v_fma_f64 v[30:31], v[186:187], s[20:21], v[162:163]
	v_add_f64_e32 v[22:23], v[164:165], v[22:23]
	v_mul_f64_e32 v[164:165], s[18:19], v[202:203]
	s_delay_alu instid0(VALU_DEP_3) | instskip(NEXT) | instid1(VALU_DEP_2)
	v_add_f64_e32 v[30:31], v[30:31], v[32:33]
	v_fma_f64 v[166:167], v[222:223], s[34:35], v[164:165]
	v_fma_f64 v[32:33], v[222:223], s[38:39], v[164:165]
	s_delay_alu instid0(VALU_DEP_2) | instskip(SKIP_1) | instid1(VALU_DEP_3)
	v_add_f64_e32 v[20:21], v[166:167], v[20:21]
	v_mul_f64_e32 v[166:167], s[34:35], v[236:237]
	v_add_f64_e32 v[28:29], v[32:33], v[28:29]
	s_delay_alu instid0(VALU_DEP_2) | instskip(SKIP_1) | instid1(VALU_DEP_2)
	v_fma_f64 v[168:169], v[190:191], s[18:19], -v[166:167]
	v_fma_f64 v[32:33], v[190:191], s[18:19], v[166:167]
	v_add_f64_e32 v[22:23], v[168:169], v[22:23]
	v_mul_f64_e32 v[168:169], s[2:3], v[210:211]
	s_delay_alu instid0(VALU_DEP_3) | instskip(NEXT) | instid1(VALU_DEP_2)
	v_add_f64_e32 v[30:31], v[32:33], v[30:31]
	v_fma_f64 v[170:171], v[224:225], s[46:47], v[168:169]
	v_fma_f64 v[32:33], v[224:225], s[28:29], v[168:169]
	s_delay_alu instid0(VALU_DEP_2) | instskip(SKIP_1) | instid1(VALU_DEP_3)
	v_add_f64_e32 v[20:21], v[170:171], v[20:21]
	v_mul_f64_e32 v[170:171], s[46:47], v[238:239]
	v_add_f64_e32 v[28:29], v[32:33], v[28:29]
	s_delay_alu instid0(VALU_DEP_2) | instskip(SKIP_1) | instid1(VALU_DEP_2)
	v_fma_f64 v[32:33], v[194:195], s[2:3], v[170:171]
	v_fma_f64 v[172:173], v[194:195], s[2:3], -v[170:171]
	v_add_f64_e32 v[32:33], v[32:33], v[30:31]
	v_fma_f64 v[30:31], v[226:227], s[26:27], v[176:177]
	s_delay_alu instid0(VALU_DEP_3) | instskip(SKIP_1) | instid1(VALU_DEP_3)
	v_add_f64_e32 v[172:173], v[172:173], v[22:23]
	v_fma_f64 v[22:23], v[226:227], s[44:45], v[176:177]
	v_add_f64_e32 v[30:31], v[30:31], v[28:29]
	v_add_f64_e32 v[28:29], v[34:35], v[32:33]
	v_fma_f64 v[32:33], v[214:215], s[46:47], v[86:87]
	v_fma_f64 v[34:35], v[220:221], s[24:25], v[90:91]
	v_add_f64_e32 v[22:23], v[22:23], v[20:21]
	v_fma_f64 v[20:21], v[206:207], s[16:17], -v[174:175]
	s_delay_alu instid0(VALU_DEP_4) | instskip(NEXT) | instid1(VALU_DEP_2)
	v_add_f64_e32 v[32:33], v[32:33], v[70:71]
	v_add_f64_e32 v[20:21], v[20:21], v[172:173]
	s_delay_alu instid0(VALU_DEP_2) | instskip(SKIP_1) | instid1(VALU_DEP_2)
	v_add_f64_e32 v[32:33], v[34:35], v[32:33]
	v_fma_f64 v[34:35], v[186:187], s[14:15], v[92:93]
	v_add_f64_e32 v[32:33], v[46:47], v[32:33]
	s_delay_alu instid0(VALU_DEP_2) | instskip(SKIP_2) | instid1(VALU_DEP_2)
	v_add_f64_e32 v[34:35], v[34:35], v[44:45]
	v_fma_f64 v[44:45], v[224:225], s[44:45], v[146:147]
	v_fma_f64 v[46:47], v[190:191], s[20:21], v[144:145]
	v_add_f64_e32 v[32:33], v[44:45], v[32:33]
	s_delay_alu instid0(VALU_DEP_2) | instskip(SKIP_2) | instid1(VALU_DEP_1)
	v_add_f64_e32 v[34:35], v[46:47], v[34:35]
	v_fma_f64 v[46:47], v[226:227], s[36:37], v[152:153]
	v_fma_f64 v[44:45], v[194:195], s[16:17], v[150:151]
	v_add_f64_e32 v[44:45], v[44:45], v[34:35]
	s_delay_alu instid0(VALU_DEP_3) | instskip(SKIP_1) | instid1(VALU_DEP_3)
	v_add_f64_e32 v[34:35], v[46:47], v[32:33]
	v_mul_f64_e32 v[46:47], s[16:17], v[182:183]
	v_add_f64_e32 v[32:33], v[56:57], v[44:45]
	v_mul_f64_e32 v[44:45], s[18:19], v[198:199]
	s_delay_alu instid0(VALU_DEP_3) | instskip(SKIP_1) | instid1(VALU_DEP_3)
	v_add_f64_e32 v[46:47], v[184:185], v[46:47]
	v_mul_f64_e32 v[56:57], s[18:19], v[186:187]
	v_add_f64_e32 v[44:45], v[200:201], v[44:45]
	s_delay_alu instid0(VALU_DEP_3) | instskip(NEXT) | instid1(VALU_DEP_3)
	v_add_f64_e32 v[46:47], v[46:47], v[72:73]
	v_add_f64_e64 v[56:57], v[56:57], -v[188:189]
	s_delay_alu instid0(VALU_DEP_2) | instskip(NEXT) | instid1(VALU_DEP_2)
	v_add_f64_e32 v[44:45], v[44:45], v[46:47]
	v_add_f64_e32 v[46:47], v[56:57], v[54:55]
	v_mul_f64_e32 v[54:55], s[12:13], v[210:211]
	v_mul_f64_e32 v[56:57], s[12:13], v[194:195]
	s_delay_alu instid0(VALU_DEP_4) | instskip(SKIP_1) | instid1(VALU_DEP_4)
	v_add_f64_e32 v[44:45], v[58:59], v[44:45]
	v_mul_f64_e32 v[58:59], s[2:3], v[216:217]
	v_add_f64_e32 v[54:55], v[212:213], v[54:55]
	s_delay_alu instid0(VALU_DEP_4) | instskip(SKIP_4) | instid1(VALU_DEP_4)
	v_add_f64_e64 v[56:57], v[56:57], -v[196:197]
	v_add_f64_e32 v[46:47], v[64:65], v[46:47]
	v_mul_f64_e32 v[64:65], s[2:3], v[206:207]
	v_add_f64_e32 v[58:59], v[218:219], v[58:59]
	v_add_f64_e32 v[44:45], v[54:55], v[44:45]
	;; [unrolled: 1-line block ×3, first 2 shown]
	s_delay_alu instid0(VALU_DEP_4) | instskip(NEXT) | instid1(VALU_DEP_3)
	v_add_f64_e64 v[64:65], v[64:65], -v[208:209]
	v_add_f64_e32 v[56:57], v[58:59], v[44:45]
	s_wait_loadcnt 0x1
	v_add_f64_e32 v[44:45], v[60:61], v[36:37]
	scratch_load_b64 v[36:37], off, off offset:488 th:TH_LOAD_LU ; 8-byte Folded Reload
	v_add_f64_e32 v[54:55], v[64:65], v[46:47]
	v_add_f64_e32 v[44:45], v[44:45], v[76:77]
	s_delay_alu instid0(VALU_DEP_1)
	v_add_f64_e32 v[44:45], v[44:45], v[80:81]
	s_wait_loadcnt 0x0
	v_add_f64_e32 v[46:47], v[62:63], v[36:37]
	scratch_load_b64 v[36:37], off, off offset:512 th:TH_LOAD_LU ; 8-byte Folded Reload
	s_wait_loadcnt 0x0
	v_add_f64_e32 v[46:47], v[46:47], v[36:37]
	scratch_load_b64 v[36:37], off, off offset:544 th:TH_LOAD_LU ; 8-byte Folded Reload
	v_add_f64_e32 v[46:47], v[46:47], v[74:75]
	s_delay_alu instid0(VALU_DEP_1)
	v_add_f64_e32 v[46:47], v[46:47], v[78:79]
	s_wait_loadcnt 0x0
	v_add_f64_e32 v[44:45], v[44:45], v[36:37]
	scratch_load_b64 v[36:37], off, off offset:560 th:TH_LOAD_LU ; 8-byte Folded Reload
	s_wait_loadcnt 0x0
	v_add_f64_e32 v[44:45], v[44:45], v[36:37]
	scratch_load_b64 v[36:37], off, off offset:528 th:TH_LOAD_LU ; 8-byte Folded Reload
	s_wait_loadcnt 0x0
	v_add_f64_e32 v[46:47], v[46:47], v[36:37]
	v_add_f64_e32 v[36:37], v[44:45], v[96:97]
	s_delay_alu instid0(VALU_DEP_2) | instskip(NEXT) | instid1(VALU_DEP_2)
	v_add_f64_e32 v[44:45], v[46:47], v[98:99]
	v_add_f64_e32 v[36:37], v[36:37], v[38:39]
	scratch_load_b64 v[38:39], off, off offset:576 th:TH_LOAD_LU ; 8-byte Folded Reload
	v_add_f64_e32 v[36:37], v[36:37], v[40:41]
	scratch_load_b64 v[40:41], off, off offset:640 th:TH_LOAD_LU ; 8-byte Folded Reload
	;; [unrolled: 2-line block ×3, first 2 shown]
	v_add_f64_e32 v[36:37], v[36:37], v[50:51]
	s_wait_loadcnt 0x2
	v_add_f64_e32 v[38:39], v[44:45], v[38:39]
	scratch_load_b64 v[44:45], off, off offset:608 th:TH_LOAD_LU ; 8-byte Folded Reload
	s_wait_loadcnt 0x0
	v_add_f64_e32 v[38:39], v[38:39], v[44:45]
	s_delay_alu instid0(VALU_DEP_1) | instskip(NEXT) | instid1(VALU_DEP_1)
	v_add_f64_e32 v[38:39], v[38:39], v[42:43]
	v_add_f64_e32 v[40:41], v[38:39], v[40:41]
	;; [unrolled: 1-line block ×3, first 2 shown]
	scratch_load_b64 v[36:37], off, off offset:704 th:TH_LOAD_LU ; 8-byte Folded Reload
	s_wait_loadcnt 0x0
	v_add_f64_e32 v[36:37], v[40:41], v[36:37]
	s_clause 0x1
	scratch_load_b32 v40, off, off offset:436
	scratch_load_b32 v41, off, off offset:4
	s_wait_loadcnt 0x1
	v_mul_u32_u24_e32 v40, 52, v40
	s_wait_loadcnt 0x0
	s_delay_alu instid0(VALU_DEP_1)
	v_or_b32_e32 v40, v40, v41
	scratch_load_b128 v[41:44], off, off offset:24 ; 16-byte Folded Reload
	v_lshlrev_b32_e32 v40, 4, v40
	s_wait_loadcnt 0x0
	ds_store_b128 v40, v[41:44] offset:704
	ds_store_b128 v40, v[12:15] offset:128
	;; [unrolled: 1-line block ×11, first 2 shown]
	ds_store_b128 v40, v[36:39]
	scratch_load_b128 v[0:3], off, off offset:8 ; 16-byte Folded Reload
	s_wait_loadcnt 0x0
	ds_store_b128 v40, v[0:3] offset:768
.LBB0_5:
	s_or_b32 exec_lo, exec_lo, s33
	scratch_load_b32 v0, off, off           ; 4-byte Folded Reload
	global_wb scope:SCOPE_SE
	s_wait_storecnt 0x0
	s_wait_loadcnt_dscnt 0x0
	s_barrier_signal -1
	s_barrier_wait -1
	global_inv scope:SCOPE_SE
	ds_load_b128 v[68:71], v242 offset:3328
	ds_load_b128 v[72:75], v242 offset:4160
	;; [unrolled: 1-line block ×8, first 2 shown]
	s_mov_b32 s13, 0xbfebb67a
	ds_load_b128 v[4:7], v242 offset:10816
	s_clause 0x3
	scratch_load_b32 v163, off, off offset:688 th:TH_LOAD_LU
	scratch_load_b32 v166, off, off offset:724 th:TH_LOAD_LU
	;; [unrolled: 1-line block ×4, first 2 shown]
	ds_load_b128 v[64:67], v242 offset:2496
	v_lshlrev_b32_e32 v76, 4, v0
	ds_load_b128 v[0:3], v242 offset:9984
	global_load_b128 v[144:147], v76, s[10:11] offset:800
	s_wait_loadcnt_dscnt 0x0
	v_mul_f64_e32 v[8:9], v[2:3], v[146:147]
	v_mul_f64_e32 v[10:11], v[0:1], v[146:147]
	s_delay_alu instid0(VALU_DEP_2) | instskip(SKIP_4) | instid1(VALU_DEP_1)
	v_fma_f64 v[56:57], v[0:1], v[144:145], -v[8:9]
	scratch_load_b32 v9, off, off offset:444 th:TH_LOAD_LU ; 4-byte Folded Reload
	v_fma_f64 v[58:59], v[2:3], v[144:145], v[10:11]
	v_mul_f64_e32 v[0:1], v[6:7], v[146:147]
	v_mul_f64_e32 v[2:3], v[4:5], v[146:147]
	v_fma_f64 v[10:11], v[6:7], v[144:145], v[2:3]
	s_wait_loadcnt 0x0
	v_and_b32_e32 v8, 0xff, v9
	s_delay_alu instid0(VALU_DEP_1) | instskip(NEXT) | instid1(VALU_DEP_1)
	v_mul_lo_u16 v8, 0x4f, v8
	v_lshrrev_b16 v8, 12, v8
	s_delay_alu instid0(VALU_DEP_1) | instskip(NEXT) | instid1(VALU_DEP_1)
	v_mul_lo_u16 v8, v8, 52
	v_sub_nc_u16 v8, v9, v8
	s_delay_alu instid0(VALU_DEP_1) | instskip(NEXT) | instid1(VALU_DEP_1)
	v_and_b32_e32 v8, 0xff, v8
	v_lshlrev_b32_e32 v160, 4, v8
	v_fma_f64 v[8:9], v[4:5], v[144:145], -v[0:1]
	ds_load_b128 v[0:3], v242 offset:11648
	global_load_b128 v[14:17], v160, s[10:11] offset:800
	s_wait_loadcnt_dscnt 0x0
	v_mul_f64_e32 v[4:5], v[2:3], v[16:17]
	scratch_store_b128 off, v[14:17], off offset:496 ; 16-byte Folded Spill
	v_fma_f64 v[12:13], v[0:1], v[14:15], -v[4:5]
	v_mul_f64_e32 v[0:1], v[0:1], v[16:17]
	s_delay_alu instid0(VALU_DEP_1) | instskip(SKIP_3) | instid1(VALU_DEP_1)
	v_fma_f64 v[14:15], v[2:3], v[14:15], v[0:1]
	scratch_load_b32 v1, off, off offset:440 th:TH_LOAD_LU ; 4-byte Folded Reload
	s_wait_loadcnt 0x0
	v_and_b32_e32 v0, 0xff, v1
	v_mul_lo_u16 v0, 0x4f, v0
	s_delay_alu instid0(VALU_DEP_1) | instskip(NEXT) | instid1(VALU_DEP_1)
	v_lshrrev_b16 v0, 12, v0
	v_mul_lo_u16 v0, v0, 52
	s_delay_alu instid0(VALU_DEP_1) | instskip(NEXT) | instid1(VALU_DEP_1)
	v_sub_nc_u16 v0, v1, v0
	v_and_b32_e32 v0, 0xff, v0
	s_delay_alu instid0(VALU_DEP_1)
	v_lshlrev_b32_e32 v162, 4, v0
	ds_load_b128 v[0:3], v242 offset:12480
	global_load_b128 v[18:21], v162, s[10:11] offset:800
	s_wait_loadcnt_dscnt 0x0
	v_mul_f64_e32 v[4:5], v[2:3], v[20:21]
	scratch_store_b128 off, v[18:21], off offset:512 ; 16-byte Folded Spill
	v_fma_f64 v[16:17], v[0:1], v[18:19], -v[4:5]
	v_mul_f64_e32 v[0:1], v[0:1], v[20:21]
	s_delay_alu instid0(VALU_DEP_2) | instskip(NEXT) | instid1(VALU_DEP_2)
	v_add_f64_e64 v[16:17], v[64:65], -v[16:17]
	v_fma_f64 v[18:19], v[2:3], v[18:19], v[0:1]
	v_and_b32_e32 v0, 0xffff, v164
	s_delay_alu instid0(VALU_DEP_1) | instskip(NEXT) | instid1(VALU_DEP_1)
	v_mul_u32_u24_e32 v55, 0x4ec5, v0
	v_lshrrev_b32_e32 v0, 20, v55
	s_delay_alu instid0(VALU_DEP_1) | instskip(NEXT) | instid1(VALU_DEP_1)
	v_mul_lo_u16 v0, v0, 52
	v_sub_nc_u16 v0, v164, v0
	s_delay_alu instid0(VALU_DEP_1) | instskip(NEXT) | instid1(VALU_DEP_1)
	v_and_b32_e32 v0, 0xffff, v0
	v_lshlrev_b32_e32 v161, 4, v0
	ds_load_b128 v[0:3], v242 offset:13312
	global_load_b128 v[22:25], v161, s[10:11] offset:800
	v_fma_f64 v[64:65], v[64:65], 2.0, -v[16:17]
	v_add_f64_e64 v[18:19], v[66:67], -v[18:19]
	s_delay_alu instid0(VALU_DEP_1)
	v_fma_f64 v[66:67], v[66:67], 2.0, -v[18:19]
	s_wait_loadcnt_dscnt 0x0
	v_mul_f64_e32 v[4:5], v[2:3], v[24:25]
	scratch_store_b128 off, v[22:25], off offset:528 ; 16-byte Folded Spill
	v_fma_f64 v[20:21], v[0:1], v[22:23], -v[4:5]
	v_mul_f64_e32 v[0:1], v[0:1], v[24:25]
	s_delay_alu instid0(VALU_DEP_2) | instskip(NEXT) | instid1(VALU_DEP_2)
	v_add_f64_e64 v[20:21], v[68:69], -v[20:21]
	v_fma_f64 v[22:23], v[2:3], v[22:23], v[0:1]
	v_and_b32_e32 v0, 0xffff, v163
	s_delay_alu instid0(VALU_DEP_1) | instskip(NEXT) | instid1(VALU_DEP_1)
	v_mul_u32_u24_e32 v54, 0x4ec5, v0
	v_lshrrev_b32_e32 v0, 20, v54
	s_delay_alu instid0(VALU_DEP_1) | instskip(NEXT) | instid1(VALU_DEP_1)
	v_mul_lo_u16 v0, v0, 52
	v_sub_nc_u16 v0, v163, v0
	s_delay_alu instid0(VALU_DEP_1) | instskip(NEXT) | instid1(VALU_DEP_1)
	v_and_b32_e32 v0, 0xffff, v0
	v_lshlrev_b32_e32 v159, 4, v0
	ds_load_b128 v[0:3], v242 offset:14144
	global_load_b128 v[26:29], v159, s[10:11] offset:800
	v_fma_f64 v[68:69], v[68:69], 2.0, -v[20:21]
	v_add_f64_e64 v[22:23], v[70:71], -v[22:23]
	s_delay_alu instid0(VALU_DEP_1)
	v_fma_f64 v[70:71], v[70:71], 2.0, -v[22:23]
	;; [unrolled: 24-line block ×4, first 2 shown]
	s_wait_loadcnt_dscnt 0x0
	v_mul_f64_e32 v[4:5], v[2:3], v[36:37]
	scratch_store_b128 off, v[34:37], off offset:576 ; 16-byte Folded Spill
	v_fma_f64 v[32:33], v[0:1], v[34:35], -v[4:5]
	v_mul_f64_e32 v[0:1], v[0:1], v[36:37]
	s_delay_alu instid0(VALU_DEP_2) | instskip(NEXT) | instid1(VALU_DEP_2)
	v_add_f64_e64 v[32:33], v[81:82], -v[32:33]
	v_fma_f64 v[34:35], v[2:3], v[34:35], v[0:1]
	scratch_load_b32 v1, off, off offset:460 th:TH_LOAD_LU ; 4-byte Folded Reload
	v_fma_f64 v[81:82], v[81:82], 2.0, -v[32:33]
	v_add_f64_e64 v[34:35], v[83:84], -v[34:35]
	s_delay_alu instid0(VALU_DEP_1) | instskip(SKIP_2) | instid1(VALU_DEP_1)
	v_fma_f64 v[83:84], v[83:84], 2.0, -v[34:35]
	s_wait_loadcnt 0x0
	v_and_b32_e32 v0, 0xffff, v1
	v_mul_u32_u24_e32 v0, 0x4ec5, v0
	s_delay_alu instid0(VALU_DEP_1) | instskip(NEXT) | instid1(VALU_DEP_1)
	v_lshrrev_b32_e32 v0, 20, v0
	v_mul_lo_u16 v0, v0, 52
	s_delay_alu instid0(VALU_DEP_1) | instskip(NEXT) | instid1(VALU_DEP_1)
	v_sub_nc_u16 v0, v1, v0
	v_and_b32_e32 v0, 0xffff, v0
	s_delay_alu instid0(VALU_DEP_1)
	v_lshlrev_b32_e32 v156, 4, v0
	ds_load_b128 v[0:3], v242 offset:16640
	global_load_b128 v[38:41], v156, s[10:11] offset:800
	s_wait_loadcnt_dscnt 0x0
	v_mul_f64_e32 v[4:5], v[2:3], v[40:41]
	scratch_store_b128 off, v[38:41], off offset:592 ; 16-byte Folded Spill
	v_fma_f64 v[36:37], v[0:1], v[38:39], -v[4:5]
	v_mul_f64_e32 v[0:1], v[0:1], v[40:41]
	s_delay_alu instid0(VALU_DEP_2) | instskip(NEXT) | instid1(VALU_DEP_2)
	v_add_f64_e64 v[36:37], v[85:86], -v[36:37]
	v_fma_f64 v[38:39], v[2:3], v[38:39], v[0:1]
	scratch_load_b32 v1, off, off offset:456 th:TH_LOAD_LU ; 4-byte Folded Reload
	v_fma_f64 v[85:86], v[85:86], 2.0, -v[36:37]
	v_add_f64_e64 v[38:39], v[87:88], -v[38:39]
	s_delay_alu instid0(VALU_DEP_1) | instskip(SKIP_2) | instid1(VALU_DEP_1)
	v_fma_f64 v[87:88], v[87:88], 2.0, -v[38:39]
	s_wait_loadcnt 0x0
	v_and_b32_e32 v0, 0xffff, v1
	v_mul_u32_u24_e32 v0, 0x4ec5, v0
	s_delay_alu instid0(VALU_DEP_1) | instskip(NEXT) | instid1(VALU_DEP_1)
	v_lshrrev_b32_e32 v0, 20, v0
	v_mul_lo_u16 v0, v0, 52
	s_delay_alu instid0(VALU_DEP_1) | instskip(NEXT) | instid1(VALU_DEP_1)
	v_sub_nc_u16 v0, v1, v0
	v_and_b32_e32 v0, 0xffff, v0
	s_delay_alu instid0(VALU_DEP_1)
	v_lshlrev_b32_e32 v95, 4, v0
	ds_load_b128 v[0:3], v242 offset:17472
	global_load_b128 v[42:45], v95, s[10:11] offset:800
	;; [unrolled: 26-line block ×4, first 2 shown]
	s_wait_loadcnt_dscnt 0x0
	v_mul_f64_e32 v[4:5], v[2:3], v[62:63]
	scratch_store_b128 off, v[60:63], off offset:640 ; 16-byte Folded Spill
	v_fma_f64 v[48:49], v[0:1], v[60:61], -v[4:5]
	v_mul_f64_e32 v[0:1], v[0:1], v[62:63]
	ds_load_b128 v[4:7], v242
	v_add_f64_e64 v[48:49], v[152:153], -v[48:49]
	v_fma_f64 v[50:51], v[2:3], v[60:61], v[0:1]
	ds_load_b128 v[60:63], v242 offset:1664
	s_wait_dscnt 0x1
	v_add_f64_e64 v[0:1], v[4:5], -v[56:57]
	v_add_f64_e64 v[2:3], v[6:7], -v[58:59]
	ds_load_b128 v[56:59], v242 offset:832
	global_wb scope:SCOPE_SE
	s_wait_storecnt_dscnt 0x0
	s_barrier_signal -1
	s_barrier_wait -1
	global_inv scope:SCOPE_SE
	v_add_f64_e64 v[12:13], v[60:61], -v[12:13]
	v_add_f64_e64 v[14:15], v[62:63], -v[14:15]
	v_add_f64_e64 v[8:9], v[56:57], -v[8:9]
	v_add_f64_e64 v[10:11], v[58:59], -v[10:11]
	v_fma_f64 v[152:153], v[152:153], 2.0, -v[48:49]
	v_add_f64_e64 v[50:51], v[154:155], -v[50:51]
	v_fma_f64 v[4:5], v[4:5], 2.0, -v[0:1]
	v_fma_f64 v[6:7], v[6:7], 2.0, -v[2:3]
	;; [unrolled: 1-line block ×6, first 2 shown]
	ds_store_b128 v242, v[0:3] offset:832
	ds_store_b128 v242, v[8:11] offset:2496
	ds_store_b128 v242, v[4:7]
	ds_store_b128 v242, v[56:59] offset:1664
	ds_store_b128 v160, v[12:15] offset:4160
	ds_store_b128 v162, v[16:19] offset:5824
	ds_store_b128 v161, v[20:23] offset:7488
	ds_store_b128 v159, v[24:27] offset:9152
	ds_store_b128 v158, v[28:31] offset:10816
	ds_store_b128 v157, v[32:35] offset:12480
	ds_store_b128 v156, v[36:39] offset:14144
	ds_store_b128 v95, v[40:43] offset:15808
	ds_store_b128 v94, v[44:47] offset:17472
	ds_store_b128 v93, v[48:51] offset:19136
	scratch_load_b32 v0, off, off offset:672 th:TH_LOAD_LU ; 4-byte Folded Reload
	v_fma_f64 v[154:155], v[154:155], 2.0, -v[50:51]
	s_clause 0x7
	scratch_store_b32 off, v160, off offset:472
	scratch_store_b32 off, v159, off offset:464
	;; [unrolled: 1-line block ×8, first 2 shown]
	ds_store_b128 v160, v[60:63] offset:3328
	ds_store_b128 v159, v[72:75] offset:8320
	s_clause 0x1
	scratch_store_b32 off, v162, off offset:488
	scratch_store_b32 off, v161, off offset:480
	ds_store_b128 v162, v[64:67] offset:4992
	ds_store_b128 v161, v[68:71] offset:6656
	;; [unrolled: 1-line block ×8, first 2 shown]
	global_wb scope:SCOPE_SE
	s_wait_storecnt 0x0
	s_wait_loadcnt_dscnt 0x0
	s_barrier_signal -1
	s_barrier_wait -1
	global_inv scope:SCOPE_SE
	scratch_load_b32 v240, off, off offset:1016 th:TH_LOAD_LU ; 4-byte Folded Reload
	ds_load_b128 v[32:35], v242 offset:1664
	ds_load_b128 v[44:47], v242 offset:2496
	;; [unrolled: 1-line block ×5, first 2 shown]
	v_lshlrev_b32_e32 v10, 4, v0
	ds_load_b128 v[0:3], v242 offset:6656
	s_clause 0x1
	global_load_b128 v[192:195], v10, s[10:11] offset:1632
	global_load_b128 v[208:211], v10, s[10:11] offset:1648
	s_wait_loadcnt 0x2
	s_clause 0x1
	global_load_b128 v[204:207], v240, s[10:11] offset:1632
	global_load_b128 v[200:203], v240, s[10:11] offset:1648
	s_wait_loadcnt_dscnt 0x300
	v_mul_f64_e32 v[4:5], v[2:3], v[194:195]
	s_delay_alu instid0(VALU_DEP_1) | instskip(SKIP_1) | instid1(VALU_DEP_1)
	v_fma_f64 v[6:7], v[0:1], v[192:193], -v[4:5]
	v_mul_f64_e32 v[0:1], v[0:1], v[194:195]
	v_fma_f64 v[8:9], v[2:3], v[192:193], v[0:1]
	ds_load_b128 v[0:3], v242 offset:13312
	s_wait_loadcnt_dscnt 0x200
	v_mul_f64_e32 v[4:5], v[2:3], v[210:211]
	s_delay_alu instid0(VALU_DEP_1) | instskip(SKIP_1) | instid1(VALU_DEP_1)
	v_fma_f64 v[10:11], v[0:1], v[208:209], -v[4:5]
	v_mul_f64_e32 v[0:1], v[0:1], v[210:211]
	v_fma_f64 v[12:13], v[2:3], v[208:209], v[0:1]
	ds_load_b128 v[0:3], v242 offset:7488
	;; [unrolled: 7-line block ×4, first 2 shown]
	s_wait_dscnt 0x0
	v_mul_f64_e32 v[4:5], v[2:3], v[194:195]
	s_delay_alu instid0(VALU_DEP_1) | instskip(SKIP_1) | instid1(VALU_DEP_1)
	v_fma_f64 v[36:37], v[0:1], v[192:193], -v[4:5]
	v_mul_f64_e32 v[0:1], v[0:1], v[194:195]
	v_fma_f64 v[38:39], v[2:3], v[192:193], v[0:1]
	ds_load_b128 v[0:3], v242 offset:14976
	s_wait_dscnt 0x0
	v_mul_f64_e32 v[4:5], v[2:3], v[210:211]
	s_delay_alu instid0(VALU_DEP_1) | instskip(SKIP_1) | instid1(VALU_DEP_1)
	v_fma_f64 v[40:41], v[0:1], v[208:209], -v[4:5]
	v_mul_f64_e32 v[0:1], v[0:1], v[210:211]
	v_fma_f64 v[42:43], v[2:3], v[208:209], v[0:1]
	ds_load_b128 v[0:3], v242 offset:9152
	;; [unrolled: 7-line block ×3, first 2 shown]
	s_wait_dscnt 0x0
	v_mul_f64_e32 v[4:5], v[2:3], v[202:203]
	s_delay_alu instid0(VALU_DEP_1) | instskip(SKIP_1) | instid1(VALU_DEP_1)
	v_fma_f64 v[56:57], v[0:1], v[200:201], -v[4:5]
	v_mul_f64_e32 v[0:1], v[0:1], v[202:203]
	v_fma_f64 v[58:59], v[2:3], v[200:201], v[0:1]
	v_lshrrev_b32_e32 v0, 21, v55
	s_delay_alu instid0(VALU_DEP_1) | instskip(NEXT) | instid1(VALU_DEP_1)
	v_mul_lo_u16 v0, 0x68, v0
	v_sub_nc_u16 v0, v164, v0
	s_delay_alu instid0(VALU_DEP_1) | instskip(SKIP_1) | instid1(VALU_DEP_2)
	v_lshlrev_b16 v1, 5, v0
	v_and_b32_e32 v0, 0xffff, v0
	v_and_b32_e32 v1, 0xffff, v1
	s_delay_alu instid0(VALU_DEP_2) | instskip(NEXT) | instid1(VALU_DEP_2)
	v_lshlrev_b32_e32 v0, 4, v0
	v_add_co_u32 v14, s2, s10, v1
	s_wait_alu 0xf1ff
	v_add_co_ci_u32_e64 v15, null, s11, 0, s2
	ds_load_b128 v[1:4], v242 offset:9984
	global_load_b128 v[18:21], v[14:15], off offset:1632
	s_wait_loadcnt_dscnt 0x0
	v_mul_f64_e32 v[16:17], v[3:4], v[20:21]
	scratch_store_b128 off, v[18:21], off offset:656 ; 16-byte Folded Spill
	v_fma_f64 v[60:61], v[1:2], v[18:19], -v[16:17]
	v_mul_f64_e32 v[1:2], v[1:2], v[20:21]
	s_delay_alu instid0(VALU_DEP_1)
	v_fma_f64 v[62:63], v[3:4], v[18:19], v[1:2]
	global_load_b128 v[16:19], v[14:15], off offset:1648
	ds_load_b128 v[1:4], v242 offset:16640
	s_wait_loadcnt_dscnt 0x0
	v_mul_f64_e32 v[14:15], v[3:4], v[18:19]
	scratch_store_b128 off, v[16:19], off offset:672 ; 16-byte Folded Spill
	v_fma_f64 v[64:65], v[1:2], v[16:17], -v[14:15]
	v_mul_f64_e32 v[1:2], v[1:2], v[18:19]
	s_delay_alu instid0(VALU_DEP_1) | instskip(SKIP_1) | instid1(VALU_DEP_1)
	v_fma_f64 v[66:67], v[3:4], v[16:17], v[1:2]
	v_lshrrev_b32_e32 v1, 21, v54
	v_mul_lo_u16 v1, 0x68, v1
	s_delay_alu instid0(VALU_DEP_1) | instskip(NEXT) | instid1(VALU_DEP_1)
	v_sub_nc_u16 v1, v163, v1
	v_lshlrev_b16 v2, 5, v1
	s_delay_alu instid0(VALU_DEP_1) | instskip(NEXT) | instid1(VALU_DEP_1)
	v_and_b32_e32 v2, 0xffff, v2
	v_add_co_u32 v14, s2, s10, v2
	s_wait_alu 0xf1ff
	v_add_co_ci_u32_e64 v15, null, s11, 0, s2
	ds_load_b128 v[2:5], v242 offset:10816
	global_load_b128 v[18:21], v[14:15], off offset:1632
	s_wait_loadcnt_dscnt 0x0
	v_mul_f64_e32 v[16:17], v[4:5], v[20:21]
	scratch_store_b128 off, v[18:21], off offset:688 ; 16-byte Folded Spill
	v_fma_f64 v[72:73], v[2:3], v[18:19], -v[16:17]
	v_mul_f64_e32 v[2:3], v[2:3], v[20:21]
	s_delay_alu instid0(VALU_DEP_1)
	v_fma_f64 v[74:75], v[4:5], v[18:19], v[2:3]
	global_load_b128 v[16:19], v[14:15], off offset:1648
	ds_load_b128 v[2:5], v242 offset:17472
	s_wait_loadcnt_dscnt 0x0
	v_mul_f64_e32 v[14:15], v[4:5], v[18:19]
	scratch_store_b128 off, v[16:19], off offset:704 ; 16-byte Folded Spill
	v_fma_f64 v[77:78], v[2:3], v[16:17], -v[14:15]
	v_mul_f64_e32 v[2:3], v[2:3], v[18:19]
	s_delay_alu instid0(VALU_DEP_1) | instskip(SKIP_1) | instid1(VALU_DEP_1)
	v_fma_f64 v[79:80], v[4:5], v[16:17], v[2:3]
	v_lshrrev_b32_e32 v2, 21, v53
	v_mul_lo_u16 v2, 0x68, v2
	s_delay_alu instid0(VALU_DEP_1) | instskip(NEXT) | instid1(VALU_DEP_1)
	v_sub_nc_u16 v95, v166, v2
	v_lshlrev_b16 v2, 5, v95
	s_delay_alu instid0(VALU_DEP_1) | instskip(NEXT) | instid1(VALU_DEP_1)
	v_and_b32_e32 v2, 0xffff, v2
	;; [unrolled: 28-line block ×3, first 2 shown]
	v_add_co_u32 v14, s2, s10, v2
	s_wait_alu 0xf1ff
	v_add_co_ci_u32_e64 v15, null, s11, 0, s2
	ds_load_b128 v[2:5], v242 offset:12480
	s_mov_b32 s2, 0xe8584caa
	s_mov_b32 s3, 0x3febb67a
	global_load_b128 v[18:21], v[14:15], off offset:1632
	s_wait_alu 0xfffe
	s_mov_b32 s12, s2
	s_wait_loadcnt_dscnt 0x0
	v_mul_f64_e32 v[16:17], v[4:5], v[20:21]
	scratch_store_b128 off, v[18:21], off offset:796 ; 16-byte Folded Spill
	v_fma_f64 v[93:94], v[2:3], v[18:19], -v[16:17]
	v_mul_f64_e32 v[2:3], v[2:3], v[20:21]
	ds_load_b128 v[20:23], v242 offset:832
	v_fma_f64 v[152:153], v[4:5], v[18:19], v[2:3]
	global_load_b128 v[16:19], v[14:15], off offset:1648
	ds_load_b128 v[2:5], v242 offset:19136
	s_wait_loadcnt_dscnt 0x0
	v_mul_f64_e32 v[14:15], v[4:5], v[18:19]
	scratch_store_b128 off, v[16:19], off offset:780 ; 16-byte Folded Spill
	v_fma_f64 v[154:155], v[2:3], v[16:17], -v[14:15]
	v_mul_f64_e32 v[2:3], v[2:3], v[18:19]
	v_add_f64_e32 v[14:15], v[6:7], v[10:11]
	s_delay_alu instid0(VALU_DEP_2)
	v_fma_f64 v[156:157], v[4:5], v[16:17], v[2:3]
	v_add_f64_e32 v[16:17], v[8:9], v[12:13]
	ds_load_b128 v[2:5], v242
	s_wait_dscnt 0x0
	v_fma_f64 v[14:15], v[14:15], -0.5, v[2:3]
	v_add_f64_e32 v[2:3], v[2:3], v[6:7]
	v_add_f64_e64 v[6:7], v[6:7], -v[10:11]
	v_add_f64_e64 v[158:159], v[152:153], -v[156:157]
	v_fma_f64 v[18:19], v[16:17], -0.5, v[4:5]
	v_add_f64_e32 v[4:5], v[4:5], v[8:9]
	v_add_f64_e64 v[8:9], v[8:9], -v[12:13]
	v_add_f64_e32 v[2:3], v[2:3], v[10:11]
	v_add_f64_e32 v[10:11], v[22:23], v[26:27]
	s_delay_alu instid0(VALU_DEP_4) | instskip(NEXT) | instid1(VALU_DEP_4)
	v_add_f64_e32 v[4:5], v[4:5], v[12:13]
	v_fma_f64 v[12:13], v[8:9], s[2:3], v[14:15]
	s_wait_alu 0xfffe
	v_fma_f64 v[16:17], v[8:9], s[12:13], v[14:15]
	v_fma_f64 v[14:15], v[6:7], s[12:13], v[18:19]
	;; [unrolled: 1-line block ×3, first 2 shown]
	v_add_f64_e32 v[6:7], v[24:25], v[28:29]
	v_add_f64_e32 v[8:9], v[26:27], v[30:31]
	v_add_f64_e64 v[26:27], v[26:27], -v[30:31]
	s_delay_alu instid0(VALU_DEP_3) | instskip(SKIP_1) | instid1(VALU_DEP_4)
	v_fma_f64 v[6:7], v[6:7], -0.5, v[20:21]
	v_add_f64_e32 v[20:21], v[20:21], v[24:25]
	v_fma_f64 v[8:9], v[8:9], -0.5, v[22:23]
	v_add_f64_e32 v[22:23], v[10:11], v[30:31]
	v_add_f64_e64 v[10:11], v[24:25], -v[28:29]
	v_fma_f64 v[24:25], v[26:27], s[2:3], v[6:7]
	v_add_f64_e32 v[20:21], v[20:21], v[28:29]
	v_fma_f64 v[28:29], v[26:27], s[12:13], v[6:7]
	v_add_f64_e32 v[6:7], v[36:37], v[40:41]
	v_fma_f64 v[26:27], v[10:11], s[12:13], v[8:9]
	v_fma_f64 v[30:31], v[10:11], s[2:3], v[8:9]
	v_add_f64_e32 v[8:9], v[38:39], v[42:43]
	v_add_f64_e32 v[10:11], v[34:35], v[38:39]
	v_add_f64_e64 v[38:39], v[38:39], -v[42:43]
	v_fma_f64 v[6:7], v[6:7], -0.5, v[32:33]
	v_add_f64_e32 v[32:33], v[32:33], v[36:37]
	v_fma_f64 v[8:9], v[8:9], -0.5, v[34:35]
	v_add_f64_e32 v[34:35], v[10:11], v[42:43]
	v_add_f64_e64 v[10:11], v[36:37], -v[40:41]
	v_fma_f64 v[36:37], v[38:39], s[2:3], v[6:7]
	v_add_f64_e32 v[32:33], v[32:33], v[40:41]
	v_fma_f64 v[40:41], v[38:39], s[12:13], v[6:7]
	v_add_f64_e32 v[6:7], v[48:49], v[56:57]
	v_fma_f64 v[38:39], v[10:11], s[12:13], v[8:9]
	v_fma_f64 v[42:43], v[10:11], s[2:3], v[8:9]
	v_add_f64_e32 v[8:9], v[50:51], v[58:59]
	v_add_f64_e32 v[10:11], v[46:47], v[50:51]
	v_add_f64_e64 v[50:51], v[50:51], -v[58:59]
	v_fma_f64 v[6:7], v[6:7], -0.5, v[44:45]
	v_add_f64_e32 v[44:45], v[44:45], v[48:49]
	v_fma_f64 v[8:9], v[8:9], -0.5, v[46:47]
	v_add_f64_e32 v[46:47], v[10:11], v[58:59]
	v_add_f64_e64 v[10:11], v[48:49], -v[56:57]
	v_fma_f64 v[48:49], v[50:51], s[2:3], v[6:7]
	v_add_f64_e32 v[44:45], v[44:45], v[56:57]
	ds_load_b128 v[56:59], v242 offset:3328
	v_fma_f64 v[52:53], v[50:51], s[12:13], v[6:7]
	v_add_f64_e32 v[6:7], v[60:61], v[64:65]
	global_wb scope:SCOPE_SE
	s_wait_storecnt_dscnt 0x0
	v_fma_f64 v[50:51], v[10:11], s[12:13], v[8:9]
	v_fma_f64 v[54:55], v[10:11], s[2:3], v[8:9]
	v_add_f64_e32 v[8:9], v[62:63], v[66:67]
	s_barrier_signal -1
	s_barrier_wait -1
	global_inv scope:SCOPE_SE
	ds_store_b128 v242, v[2:5]
	ds_store_b128 v242, v[20:23] offset:832
	ds_store_b128 v242, v[32:35] offset:4992
	ds_store_b128 v242, v[44:47] offset:5824
	ds_store_b128 v242, v[12:15] offset:1664
	ds_store_b128 v242, v[24:27] offset:2496
	ds_store_b128 v242, v[16:19] offset:3328
	ds_store_b128 v242, v[28:31] offset:4160
	ds_store_b128 v242, v[36:39] offset:6656
	ds_store_b128 v242, v[48:51] offset:7488
	ds_store_b128 v242, v[40:43] offset:8320
	ds_store_b128 v242, v[52:55] offset:9152
	v_add_f64_e32 v[10:11], v[58:59], v[62:63]
	v_add_f64_e64 v[62:63], v[62:63], -v[66:67]
	v_fma_f64 v[6:7], v[6:7], -0.5, v[56:57]
	v_add_f64_e32 v[56:57], v[56:57], v[60:61]
	v_fma_f64 v[8:9], v[8:9], -0.5, v[58:59]
	v_add_f64_e32 v[58:59], v[10:11], v[66:67]
	v_add_f64_e64 v[10:11], v[60:61], -v[64:65]
	v_fma_f64 v[60:61], v[62:63], s[2:3], v[6:7]
	v_add_f64_e32 v[56:57], v[56:57], v[64:65]
	v_fma_f64 v[64:65], v[62:63], s[12:13], v[6:7]
	v_add_f64_e32 v[6:7], v[72:73], v[77:78]
	v_fma_f64 v[62:63], v[10:11], s[12:13], v[8:9]
	v_fma_f64 v[66:67], v[10:11], s[2:3], v[8:9]
	v_add_f64_e32 v[8:9], v[74:75], v[79:80]
	v_add_f64_e32 v[10:11], v[70:71], v[74:75]
	v_add_f64_e64 v[74:75], v[74:75], -v[79:80]
	ds_store_b128 v0, v[56:59] offset:9984
	ds_store_b128 v0, v[60:63] offset:11648
	v_fma_f64 v[6:7], v[6:7], -0.5, v[68:69]
	v_add_f64_e32 v[68:69], v[68:69], v[72:73]
	v_fma_f64 v[8:9], v[8:9], -0.5, v[70:71]
	v_add_f64_e32 v[70:71], v[10:11], v[79:80]
	v_add_f64_e64 v[10:11], v[72:73], -v[77:78]
	scratch_store_b32 off, v0, off offset:828 ; 4-byte Folded Spill
	ds_store_b128 v0, v[64:67] offset:13312
	v_and_b32_e32 v0, 0xffff, v1
	s_delay_alu instid0(VALU_DEP_1)
	v_lshlrev_b32_e32 v0, 4, v0
	v_fma_f64 v[72:73], v[74:75], s[2:3], v[6:7]
	v_add_f64_e32 v[68:69], v[68:69], v[77:78]
	v_fma_f64 v[77:78], v[74:75], s[12:13], v[6:7]
	v_add_f64_e32 v[6:7], v[85:86], v[89:90]
	v_fma_f64 v[74:75], v[10:11], s[12:13], v[8:9]
	v_fma_f64 v[79:80], v[10:11], s[2:3], v[8:9]
	v_add_f64_e32 v[8:9], v[87:88], v[91:92]
	v_add_f64_e32 v[10:11], v[83:84], v[87:88]
	v_add_f64_e64 v[87:88], v[87:88], -v[91:92]
	ds_store_b128 v0, v[68:71] offset:9984
	ds_store_b128 v0, v[72:75] offset:11648
	v_fma_f64 v[6:7], v[6:7], -0.5, v[81:82]
	v_add_f64_e32 v[81:82], v[81:82], v[85:86]
	v_fma_f64 v[8:9], v[8:9], -0.5, v[83:84]
	v_add_f64_e32 v[83:84], v[10:11], v[91:92]
	v_add_f64_e64 v[10:11], v[85:86], -v[89:90]
	scratch_store_b32 off, v0, off offset:812 ; 4-byte Folded Spill
	ds_store_b128 v0, v[77:80] offset:13312
	v_and_b32_e32 v0, 0xffff, v95
	s_delay_alu instid0(VALU_DEP_1)
	v_lshlrev_b32_e32 v0, 4, v0
	v_fma_f64 v[85:86], v[87:88], s[2:3], v[6:7]
	v_add_f64_e32 v[81:82], v[81:82], v[89:90]
	v_fma_f64 v[89:90], v[87:88], s[12:13], v[6:7]
	v_add_f64_e32 v[6:7], v[93:94], v[154:155]
	v_fma_f64 v[87:88], v[10:11], s[12:13], v[8:9]
	v_fma_f64 v[91:92], v[10:11], s[2:3], v[8:9]
	v_add_f64_e32 v[8:9], v[152:153], v[156:157]
	v_add_f64_e32 v[10:11], v[150:151], v[152:153]
	ds_store_b128 v0, v[81:84] offset:14976
	ds_store_b128 v0, v[85:88] offset:16640
	v_fma_f64 v[6:7], v[6:7], -0.5, v[148:149]
	v_add_f64_e32 v[148:149], v[148:149], v[93:94]
	v_fma_f64 v[8:9], v[8:9], -0.5, v[150:151]
	v_add_f64_e32 v[150:151], v[10:11], v[156:157]
	v_add_f64_e64 v[10:11], v[93:94], -v[154:155]
	scratch_store_b32 off, v0, off offset:740 ; 4-byte Folded Spill
	ds_store_b128 v0, v[89:92] offset:18304
	v_and_b32_e32 v0, 0xffff, v160
	s_delay_alu instid0(VALU_DEP_1)
	v_lshlrev_b32_e32 v0, 4, v0
	v_fma_f64 v[152:153], v[158:159], s[2:3], v[6:7]
	v_add_f64_e32 v[148:149], v[148:149], v[154:155]
	v_fma_f64 v[156:157], v[158:159], s[12:13], v[6:7]
	v_fma_f64 v[158:159], v[10:11], s[2:3], v[8:9]
	;; [unrolled: 1-line block ×3, first 2 shown]
	ds_store_b128 v0, v[148:151] offset:14976
	ds_store_b128 v0, v[152:155] offset:16640
	scratch_store_b32 off, v0, off offset:720 ; 4-byte Folded Spill
	ds_store_b128 v0, v[156:159] offset:18304
	global_wb scope:SCOPE_SE
	s_wait_storecnt_dscnt 0x0
	s_barrier_signal -1
	s_barrier_wait -1
	global_inv scope:SCOPE_SE
	s_clause 0x3
	global_load_b128 v[224:227], v76, s[10:11] offset:4960
	global_load_b128 v[16:19], v76, s[10:11] offset:5792
	;; [unrolled: 1-line block ×4, first 2 shown]
	ds_load_b128 v[0:3], v242 offset:9984
	ds_load_b128 v[36:39], v242 offset:1664
	;; [unrolled: 1-line block ×11, first 2 shown]
	s_add_nc_u64 s[2:3], s[8:9], 0x4e00
	ds_load_b128 v[28:31], v242 offset:832
	s_wait_loadcnt_dscnt 0x30b
	v_mul_f64_e32 v[4:5], v[2:3], v[226:227]
	s_delay_alu instid0(VALU_DEP_1) | instskip(SKIP_1) | instid1(VALU_DEP_1)
	v_fma_f64 v[8:9], v[0:1], v[224:225], -v[4:5]
	v_mul_f64_e32 v[0:1], v[0:1], v[226:227]
	v_fma_f64 v[10:11], v[2:3], v[224:225], v[0:1]
	ds_load_b128 v[0:3], v242 offset:10816
	s_wait_loadcnt_dscnt 0x200
	v_mul_f64_e32 v[4:5], v[2:3], v[18:19]
	s_delay_alu instid0(VALU_DEP_1) | instskip(SKIP_1) | instid1(VALU_DEP_2)
	v_fma_f64 v[32:33], v[0:1], v[16:17], -v[4:5]
	v_mul_f64_e32 v[0:1], v[0:1], v[18:19]
	v_add_f64_e64 v[32:33], v[28:29], -v[32:33]
	s_delay_alu instid0(VALU_DEP_2)
	v_fma_f64 v[34:35], v[2:3], v[16:17], v[0:1]
	ds_load_b128 v[0:3], v242 offset:11648
	s_wait_loadcnt_dscnt 0x100
	v_mul_f64_e32 v[4:5], v[2:3], v[14:15]
	v_fma_f64 v[28:29], v[28:29], 2.0, -v[32:33]
	v_add_f64_e64 v[34:35], v[30:31], -v[34:35]
	s_delay_alu instid0(VALU_DEP_3) | instskip(SKIP_4) | instid1(VALU_DEP_3)
	v_fma_f64 v[40:41], v[0:1], v[12:13], -v[4:5]
	global_load_b128 v[4:7], v76, s[10:11] offset:7456
	v_mul_f64_e32 v[0:1], v[0:1], v[14:15]
	v_fma_f64 v[30:31], v[30:31], 2.0, -v[34:35]
	v_add_f64_e64 v[40:41], v[36:37], -v[40:41]
	v_fma_f64 v[42:43], v[2:3], v[12:13], v[0:1]
	ds_load_b128 v[0:3], v242 offset:12480
	v_fma_f64 v[36:37], v[36:37], 2.0, -v[40:41]
	v_add_f64_e64 v[42:43], v[38:39], -v[42:43]
	s_delay_alu instid0(VALU_DEP_1) | instskip(SKIP_2) | instid1(VALU_DEP_1)
	v_fma_f64 v[38:39], v[38:39], 2.0, -v[42:43]
	s_wait_loadcnt_dscnt 0x0
	v_mul_f64_e32 v[20:21], v[2:3], v[6:7]
	v_fma_f64 v[48:49], v[0:1], v[4:5], -v[20:21]
	v_mul_f64_e32 v[0:1], v[0:1], v[6:7]
	ds_load_b128 v[20:23], v242 offset:13312
	v_add_f64_e64 v[48:49], v[44:45], -v[48:49]
	v_fma_f64 v[50:51], v[2:3], v[4:5], v[0:1]
	global_load_b128 v[0:3], v76, s[10:11] offset:8288
	v_fma_f64 v[44:45], v[44:45], 2.0, -v[48:49]
	v_add_f64_e64 v[50:51], v[46:47], -v[50:51]
	s_delay_alu instid0(VALU_DEP_1) | instskip(SKIP_2) | instid1(VALU_DEP_1)
	v_fma_f64 v[46:47], v[46:47], 2.0, -v[50:51]
	s_wait_loadcnt_dscnt 0x0
	v_mul_f64_e32 v[24:25], v[22:23], v[2:3]
	v_fma_f64 v[56:57], v[20:21], v[0:1], -v[24:25]
	v_mul_f64_e32 v[20:21], v[20:21], v[2:3]
	s_delay_alu instid0(VALU_DEP_2) | instskip(NEXT) | instid1(VALU_DEP_2)
	v_add_f64_e64 v[56:57], v[52:53], -v[56:57]
	v_fma_f64 v[58:59], v[22:23], v[0:1], v[20:21]
	ds_load_b128 v[20:23], v242 offset:14144
	s_wait_dscnt 0x0
	v_mul_f64_e32 v[24:25], v[22:23], v[246:247]
	v_fma_f64 v[52:53], v[52:53], 2.0, -v[56:57]
	v_add_f64_e64 v[58:59], v[54:55], -v[58:59]
	s_delay_alu instid0(VALU_DEP_3) | instskip(SKIP_1) | instid1(VALU_DEP_3)
	v_fma_f64 v[64:65], v[20:21], v[244:245], -v[24:25]
	v_mul_f64_e32 v[20:21], v[20:21], v[246:247]
	v_fma_f64 v[54:55], v[54:55], 2.0, -v[58:59]
	s_delay_alu instid0(VALU_DEP_3) | instskip(NEXT) | instid1(VALU_DEP_3)
	v_add_f64_e64 v[64:65], v[60:61], -v[64:65]
	v_fma_f64 v[66:67], v[22:23], v[244:245], v[20:21]
	ds_load_b128 v[20:23], v242 offset:14976
	s_wait_dscnt 0x0
	v_mul_f64_e32 v[24:25], v[22:23], v[226:227]
	v_fma_f64 v[60:61], v[60:61], 2.0, -v[64:65]
	v_add_f64_e64 v[66:67], v[62:63], -v[66:67]
	s_delay_alu instid0(VALU_DEP_3) | instskip(SKIP_1) | instid1(VALU_DEP_3)
	v_fma_f64 v[72:73], v[20:21], v[224:225], -v[24:25]
	v_mul_f64_e32 v[20:21], v[20:21], v[226:227]
	v_fma_f64 v[62:63], v[62:63], 2.0, -v[66:67]
	s_delay_alu instid0(VALU_DEP_3) | instskip(NEXT) | instid1(VALU_DEP_3)
	;; [unrolled: 12-line block ×7, first 2 shown]
	v_add_f64_e64 v[168:169], v[164:165], -v[168:169]
	v_fma_f64 v[170:171], v[22:23], v[244:245], v[20:21]
	ds_load_b128 v[20:23], v242
	global_wb scope:SCOPE_SE
	s_wait_dscnt 0x0
	s_barrier_signal -1
	s_barrier_wait -1
	global_inv scope:SCOPE_SE
	v_add_f64_e64 v[24:25], v[20:21], -v[8:9]
	v_add_f64_e64 v[26:27], v[22:23], -v[10:11]
	v_fma_f64 v[164:165], v[164:165], 2.0, -v[168:169]
	v_add_f64_e64 v[170:171], v[166:167], -v[170:171]
	s_delay_alu instid0(VALU_DEP_4) | instskip(NEXT) | instid1(VALU_DEP_4)
	v_fma_f64 v[20:21], v[20:21], 2.0, -v[24:25]
	v_fma_f64 v[22:23], v[22:23], 2.0, -v[26:27]
	s_delay_alu instid0(VALU_DEP_3)
	v_fma_f64 v[166:167], v[166:167], 2.0, -v[170:171]
	ds_store_b128 v242, v[24:27] offset:4992
	ds_store_b128 v242, v[32:35] offset:5824
	;; [unrolled: 1-line block ×12, first 2 shown]
	ds_store_b128 v242, v[20:23]
	ds_store_b128 v242, v[28:31] offset:832
	ds_store_b128 v242, v[36:39] offset:1664
	;; [unrolled: 1-line block ×11, first 2 shown]
	global_wb scope:SCOPE_SE
	s_wait_dscnt 0x0
	s_barrier_signal -1
	s_barrier_wait -1
	global_inv scope:SCOPE_SE
	s_clause 0x3
	global_load_b128 v[24:27], v76, s[10:11] offset:9952
	global_load_b128 v[28:31], v76, s[10:11] offset:10784
	;; [unrolled: 1-line block ×4, first 2 shown]
	ds_load_b128 v[20:23], v242 offset:9984
	ds_load_b128 v[81:84], v242 offset:1664
	;; [unrolled: 1-line block ×12, first 2 shown]
	s_wait_loadcnt_dscnt 0x30b
	v_mul_f64_e32 v[8:9], v[22:23], v[26:27]
	v_mul_f64_e32 v[10:11], v[20:21], v[26:27]
	scratch_store_b128 off, v[24:27], off offset:724 ; 16-byte Folded Spill
	s_wait_loadcnt 0x2
	scratch_store_b128 off, v[28:31], off offset:856 ; 16-byte Folded Spill
	s_wait_loadcnt 0x1
	;; [unrolled: 2-line block ×3, first 2 shown]
	scratch_store_b128 off, v[36:39], off offset:888 ; 16-byte Folded Spill
	v_fma_f64 v[8:9], v[20:21], v[24:25], -v[8:9]
	v_fma_f64 v[10:11], v[22:23], v[24:25], v[10:11]
	ds_load_b128 v[24:27], v242 offset:10816
	s_wait_dscnt 0x0
	v_mul_f64_e32 v[20:21], v[26:27], v[30:31]
	v_mul_f64_e32 v[22:23], v[24:25], v[30:31]
	s_delay_alu instid0(VALU_DEP_2) | instskip(NEXT) | instid1(VALU_DEP_2)
	v_fma_f64 v[20:21], v[24:25], v[28:29], -v[20:21]
	v_fma_f64 v[22:23], v[26:27], v[28:29], v[22:23]
	ds_load_b128 v[28:31], v242 offset:11648
	s_wait_dscnt 0x0
	v_mul_f64_e32 v[24:25], v[30:31], v[34:35]
	v_mul_f64_e32 v[26:27], v[28:29], v[34:35]
	v_add_f64_e64 v[77:78], v[72:73], -v[20:21]
	v_add_f64_e64 v[79:80], v[74:75], -v[22:23]
	s_delay_alu instid0(VALU_DEP_4) | instskip(NEXT) | instid1(VALU_DEP_4)
	v_fma_f64 v[24:25], v[28:29], v[32:33], -v[24:25]
	v_fma_f64 v[26:27], v[30:31], v[32:33], v[26:27]
	ds_load_b128 v[32:35], v242 offset:12480
	v_fma_f64 v[72:73], v[72:73], 2.0, -v[77:78]
	v_fma_f64 v[74:75], v[74:75], 2.0, -v[79:80]
	s_wait_dscnt 0x0
	v_mul_f64_e32 v[28:29], v[34:35], v[38:39]
	v_mul_f64_e32 v[30:31], v[32:33], v[38:39]
	v_add_f64_e64 v[85:86], v[81:82], -v[24:25]
	v_add_f64_e64 v[87:88], v[83:84], -v[26:27]
	s_delay_alu instid0(VALU_DEP_4) | instskip(NEXT) | instid1(VALU_DEP_4)
	v_fma_f64 v[28:29], v[32:33], v[36:37], -v[28:29]
	v_fma_f64 v[30:31], v[34:35], v[36:37], v[30:31]
	global_load_b128 v[32:35], v76, s[10:11] offset:13280
	ds_load_b128 v[36:39], v242 offset:13312
	v_fma_f64 v[81:82], v[81:82], 2.0, -v[85:86]
	v_fma_f64 v[83:84], v[83:84], 2.0, -v[87:88]
	v_add_f64_e64 v[148:149], v[89:90], -v[28:29]
	v_add_f64_e64 v[150:151], v[91:92], -v[30:31]
	s_delay_alu instid0(VALU_DEP_2) | instskip(NEXT) | instid1(VALU_DEP_2)
	v_fma_f64 v[89:90], v[89:90], 2.0, -v[148:149]
	v_fma_f64 v[91:92], v[91:92], 2.0, -v[150:151]
	s_wait_loadcnt_dscnt 0x0
	v_mul_f64_e32 v[40:41], v[38:39], v[34:35]
	scratch_store_b128 off, v[32:35], off offset:904 ; 16-byte Folded Spill
	v_fma_f64 v[93:94], v[36:37], v[32:33], -v[40:41]
	v_mul_f64_e32 v[36:37], v[36:37], v[34:35]
	ds_load_b128 v[40:43], v242 offset:14144
	v_add_f64_e64 v[156:157], v[152:153], -v[93:94]
	v_fma_f64 v[158:159], v[38:39], v[32:33], v[36:37]
	global_load_b128 v[32:35], v76, s[10:11] offset:14112
	v_fma_f64 v[152:153], v[152:153], 2.0, -v[156:157]
	v_add_f64_e64 v[158:159], v[154:155], -v[158:159]
	s_delay_alu instid0(VALU_DEP_1)
	v_fma_f64 v[154:155], v[154:155], 2.0, -v[158:159]
	s_wait_loadcnt_dscnt 0x0
	v_mul_f64_e32 v[44:45], v[42:43], v[34:35]
	scratch_store_b128 off, v[32:35], off offset:920 ; 16-byte Folded Spill
	v_fma_f64 v[164:165], v[40:41], v[32:33], -v[44:45]
	v_mul_f64_e32 v[40:41], v[40:41], v[34:35]
	ds_load_b128 v[44:47], v242 offset:14976
	v_add_f64_e64 v[164:165], v[160:161], -v[164:165]
	v_fma_f64 v[166:167], v[42:43], v[32:33], v[40:41]
	global_load_b128 v[32:35], v76, s[10:11] offset:14944
	v_fma_f64 v[160:161], v[160:161], 2.0, -v[164:165]
	v_add_f64_e64 v[166:167], v[162:163], -v[166:167]
	s_delay_alu instid0(VALU_DEP_1)
	;; [unrolled: 13-line block ×3, first 2 shown]
	v_fma_f64 v[170:171], v[170:171], 2.0, -v[174:175]
	s_wait_loadcnt_dscnt 0x0
	v_mul_f64_e32 v[52:53], v[50:51], v[34:35]
	scratch_store_b128 off, v[32:35], off offset:952 ; 16-byte Folded Spill
	v_fma_f64 v[180:181], v[48:49], v[32:33], -v[52:53]
	v_mul_f64_e32 v[48:49], v[48:49], v[34:35]
	ds_load_b128 v[52:55], v242 offset:16640
	v_add_f64_e64 v[180:181], v[176:177], -v[180:181]
	v_fma_f64 v[182:183], v[50:51], v[32:33], v[48:49]
	global_load_b128 v[48:51], v76, s[10:11] offset:16608
	v_fma_f64 v[176:177], v[176:177], 2.0, -v[180:181]
	v_add_f64_e64 v[182:183], v[178:179], -v[182:183]
	s_delay_alu instid0(VALU_DEP_1) | instskip(SKIP_2) | instid1(VALU_DEP_1)
	v_fma_f64 v[178:179], v[178:179], 2.0, -v[182:183]
	s_wait_loadcnt_dscnt 0x0
	v_mul_f64_e32 v[56:57], v[54:55], v[50:51]
	v_fma_f64 v[188:189], v[52:53], v[48:49], -v[56:57]
	v_mul_f64_e32 v[52:53], v[52:53], v[50:51]
	ds_load_b128 v[56:59], v242 offset:17472
	v_add_f64_e64 v[188:189], v[184:185], -v[188:189]
	v_fma_f64 v[190:191], v[54:55], v[48:49], v[52:53]
	global_load_b128 v[52:55], v76, s[10:11] offset:17440
	v_fma_f64 v[184:185], v[184:185], 2.0, -v[188:189]
	v_add_f64_e64 v[190:191], v[186:187], -v[190:191]
	s_delay_alu instid0(VALU_DEP_1) | instskip(SKIP_2) | instid1(VALU_DEP_1)
	v_fma_f64 v[186:187], v[186:187], 2.0, -v[190:191]
	s_wait_loadcnt_dscnt 0x0
	v_mul_f64_e32 v[60:61], v[58:59], v[54:55]
	;; [unrolled: 12-line block ×4, first 2 shown]
	v_fma_f64 v[232:233], v[64:65], v[60:61], -v[68:69]
	v_mul_f64_e32 v[64:65], v[64:65], v[62:63]
	s_delay_alu instid0(VALU_DEP_2) | instskip(NEXT) | instid1(VALU_DEP_2)
	v_add_f64_e64 v[232:233], v[236:237], -v[232:233]
	v_fma_f64 v[234:235], v[66:67], v[60:61], v[64:65]
	ds_load_b128 v[64:67], v242
	s_wait_dscnt 0x0
	v_add_f64_e64 v[68:69], v[64:65], -v[8:9]
	v_add_f64_e64 v[70:71], v[66:67], -v[10:11]
	v_fma_f64 v[236:237], v[236:237], 2.0, -v[232:233]
	v_add_f64_e64 v[234:235], v[238:239], -v[234:235]
	s_delay_alu instid0(VALU_DEP_4) | instskip(NEXT) | instid1(VALU_DEP_4)
	v_fma_f64 v[64:65], v[64:65], 2.0, -v[68:69]
	v_fma_f64 v[66:67], v[66:67], 2.0, -v[70:71]
	s_delay_alu instid0(VALU_DEP_3)
	v_fma_f64 v[238:239], v[238:239], 2.0, -v[234:235]
	ds_store_b128 v242, v[68:71] offset:9984
	ds_store_b128 v242, v[77:80] offset:10816
	;; [unrolled: 1-line block ×12, first 2 shown]
	ds_store_b128 v242, v[64:67]
	ds_store_b128 v242, v[72:75] offset:832
	ds_store_b128 v242, v[81:84] offset:1664
	ds_store_b128 v242, v[89:92] offset:2496
	ds_store_b128 v242, v[152:155] offset:3328
	ds_store_b128 v242, v[160:163] offset:4160
	ds_store_b128 v242, v[168:171] offset:4992
	ds_store_b128 v242, v[176:179] offset:5824
	ds_store_b128 v242, v[184:187] offset:6656
	ds_store_b128 v242, v[196:199] offset:7488
	ds_store_b128 v242, v[216:219] offset:8320
	ds_store_b128 v242, v[236:239] offset:9152
	global_wb scope:SCOPE_SE
	s_wait_storecnt_dscnt 0x0
	s_barrier_signal -1
	s_barrier_wait -1
	global_inv scope:SCOPE_SE
	scratch_load_b64 v[8:9], off, off offset:1024 th:TH_LOAD_LU ; 8-byte Folded Reload
	ds_load_b128 v[70:73], v242
	ds_load_b128 v[81:84], v242 offset:832
	s_clause 0x1
	global_load_b128 v[77:80], v76, s[2:3] offset:832
	global_load_b128 v[196:199], v76, s[2:3] offset:4992
	ds_load_b128 v[148:151], v242 offset:1664
	ds_load_b128 v[158:161], v242 offset:2496
	;; [unrolled: 1-line block ×16, first 2 shown]
	s_wait_loadcnt 0x2
	global_load_b128 v[66:69], v[8:9], off offset:19968
	s_wait_loadcnt_dscnt 0x11
	v_mul_f64_e32 v[8:9], v[72:73], v[68:69]
	v_mul_f64_e32 v[10:11], v[70:71], v[68:69]
	s_delay_alu instid0(VALU_DEP_2)
	v_fma_f64 v[64:65], v[70:71], v[66:67], -v[8:9]
	global_load_b128 v[68:71], v76, s[2:3] offset:9984
	v_fma_f64 v[66:67], v[72:73], v[66:67], v[10:11]
	ds_load_b128 v[72:75], v242 offset:9984
	s_wait_loadcnt_dscnt 0x0
	v_mul_f64_e32 v[8:9], v[74:75], v[70:71]
	v_mul_f64_e32 v[10:11], v[72:73], v[70:71]
	s_delay_alu instid0(VALU_DEP_2) | instskip(NEXT) | instid1(VALU_DEP_2)
	v_fma_f64 v[70:71], v[72:73], v[68:69], -v[8:9]
	v_fma_f64 v[72:73], v[74:75], v[68:69], v[10:11]
	v_mul_f64_e32 v[8:9], v[83:84], v[79:80]
	v_mul_f64_e32 v[10:11], v[81:82], v[79:80]
	s_delay_alu instid0(VALU_DEP_2) | instskip(NEXT) | instid1(VALU_DEP_2)
	v_fma_f64 v[79:80], v[81:82], v[77:78], -v[8:9]
	v_fma_f64 v[81:82], v[83:84], v[77:78], v[10:11]
	global_load_b128 v[83:86], v76, s[2:3] offset:10816
	s_wait_loadcnt 0x0
	v_mul_f64_e32 v[8:9], v[89:90], v[85:86]
	v_mul_f64_e32 v[10:11], v[87:88], v[85:86]
	s_delay_alu instid0(VALU_DEP_2) | instskip(NEXT) | instid1(VALU_DEP_2)
	v_fma_f64 v[85:86], v[87:88], v[83:84], -v[8:9]
	v_fma_f64 v[87:88], v[89:90], v[83:84], v[10:11]
	global_load_b128 v[89:92], v76, s[2:3] offset:1664
	s_wait_loadcnt 0x0
	;; [unrolled: 7-line block ×9, first 2 shown]
	v_mul_f64_e32 v[8:9], v[190:191], v[186:187]
	v_mul_f64_e32 v[10:11], v[188:189], v[186:187]
	s_delay_alu instid0(VALU_DEP_2) | instskip(NEXT) | instid1(VALU_DEP_2)
	v_fma_f64 v[186:187], v[188:189], v[184:185], -v[8:9]
	v_fma_f64 v[188:189], v[190:191], v[184:185], v[10:11]
	v_mul_f64_e32 v[8:9], v[214:215], v[198:199]
	v_mul_f64_e32 v[10:11], v[212:213], v[198:199]
	s_delay_alu instid0(VALU_DEP_2) | instskip(NEXT) | instid1(VALU_DEP_2)
	v_fma_f64 v[212:213], v[212:213], v[196:197], -v[8:9]
	v_fma_f64 v[214:215], v[214:215], v[196:197], v[10:11]
	global_load_b128 v[196:199], v76, s[2:3] offset:14976
	s_wait_loadcnt 0x0
	v_mul_f64_e32 v[8:9], v[218:219], v[198:199]
	v_mul_f64_e32 v[10:11], v[216:217], v[198:199]
	s_delay_alu instid0(VALU_DEP_2) | instskip(NEXT) | instid1(VALU_DEP_2)
	v_fma_f64 v[216:217], v[216:217], v[196:197], -v[8:9]
	v_fma_f64 v[218:219], v[218:219], v[196:197], v[10:11]
	global_load_b128 v[196:199], v76, s[2:3] offset:5824
	s_wait_loadcnt 0x0
	;; [unrolled: 7-line block ×6, first 2 shown]
	v_mul_f64_e32 v[8:9], v[254:255], v[198:199]
	v_mul_f64_e32 v[10:11], v[252:253], v[198:199]
	s_delay_alu instid0(VALU_DEP_2) | instskip(NEXT) | instid1(VALU_DEP_2)
	v_fma_f64 v[252:253], v[252:253], v[196:197], -v[8:9]
	v_fma_f64 v[254:255], v[254:255], v[196:197], v[10:11]
	global_load_b128 v[196:199], v76, s[2:3] offset:17472
	ds_load_b128 v[8:11], v242 offset:17472
	s_wait_loadcnt_dscnt 0x0
	v_mul_f64_e32 v[20:21], v[10:11], v[198:199]
	v_mul_f64_e32 v[22:23], v[8:9], v[198:199]
	s_delay_alu instid0(VALU_DEP_2) | instskip(NEXT) | instid1(VALU_DEP_2)
	v_fma_f64 v[8:9], v[8:9], v[196:197], -v[20:21]
	v_fma_f64 v[10:11], v[10:11], v[196:197], v[22:23]
	global_load_b128 v[196:199], v76, s[2:3] offset:8320
	ds_load_b128 v[20:23], v242 offset:8320
	s_wait_loadcnt_dscnt 0x0
	;; [unrolled: 8-line block ×4, first 2 shown]
	v_mul_f64_e32 v[74:75], v[28:29], v[198:199]
	v_mul_f64_e32 v[68:69], v[30:31], v[198:199]
	s_delay_alu instid0(VALU_DEP_2)
	v_fma_f64 v[30:31], v[30:31], v[196:197], v[74:75]
	global_load_b128 v[74:77], v76, s[2:3] offset:19136
	v_fma_f64 v[28:29], v[28:29], v[196:197], -v[68:69]
	ds_load_b128 v[196:199], v242 offset:19136
	s_wait_loadcnt_dscnt 0x0
	v_mul_f64_e32 v[68:69], v[198:199], v[76:77]
	v_mul_f64_e32 v[76:77], v[196:197], v[76:77]
	s_delay_alu instid0(VALU_DEP_2) | instskip(NEXT) | instid1(VALU_DEP_2)
	v_fma_f64 v[196:197], v[196:197], v[74:75], -v[68:69]
	v_fma_f64 v[198:199], v[198:199], v[74:75], v[76:77]
	ds_store_b128 v242, v[64:67]
	ds_store_b128 v242, v[79:82] offset:832
	ds_store_b128 v242, v[70:73] offset:9984
	;; [unrolled: 1-line block ×23, first 2 shown]
	global_wb scope:SCOPE_SE
	s_wait_dscnt 0x0
	s_barrier_signal -1
	s_barrier_wait -1
	global_inv scope:SCOPE_SE
	ds_load_b128 v[8:11], v242 offset:9984
	ds_load_b128 v[20:23], v242
	ds_load_b128 v[24:27], v242 offset:832
	ds_load_b128 v[28:31], v242 offset:10816
	ds_load_b128 v[64:67], v242 offset:1664
	ds_load_b128 v[68:71], v242 offset:2496
	ds_load_b128 v[72:75], v242 offset:11648
	ds_load_b128 v[76:79], v242 offset:12480
	ds_load_b128 v[80:83], v242 offset:3328
	ds_load_b128 v[84:87], v242 offset:4160
	ds_load_b128 v[88:91], v242 offset:13312
	ds_load_b128 v[92:95], v242 offset:14144
	ds_load_b128 v[148:151], v242 offset:4992
	ds_load_b128 v[152:155], v242 offset:5824
	ds_load_b128 v[156:159], v242 offset:14976
	ds_load_b128 v[160:163], v242 offset:15808
	ds_load_b128 v[164:167], v242 offset:6656
	ds_load_b128 v[168:171], v242 offset:7488
	ds_load_b128 v[172:175], v242 offset:16640
	ds_load_b128 v[176:179], v242 offset:17472
	ds_load_b128 v[180:183], v242 offset:8320
	ds_load_b128 v[184:187], v242 offset:9152
	ds_load_b128 v[188:191], v242 offset:18304
	ds_load_b128 v[196:199], v242 offset:19136
	global_wb scope:SCOPE_SE
	s_wait_dscnt 0x0
	s_barrier_signal -1
	s_barrier_wait -1
	global_inv scope:SCOPE_SE
	scratch_load_b32 v32, off, off offset:744 th:TH_LOAD_LU ; 4-byte Folded Reload
	v_add_f64_e64 v[8:9], v[20:21], -v[8:9]
	v_add_f64_e64 v[10:11], v[22:23], -v[10:11]
	s_delay_alu instid0(VALU_DEP_2) | instskip(NEXT) | instid1(VALU_DEP_2)
	v_fma_f64 v[20:21], v[20:21], 2.0, -v[8:9]
	v_fma_f64 v[22:23], v[22:23], 2.0, -v[10:11]
	s_wait_loadcnt 0x0
	ds_store_b128 v32, v[8:11] offset:16
	ds_store_b128 v32, v[20:23]
	v_add_f64_e64 v[8:9], v[24:25], -v[28:29]
	v_add_f64_e64 v[10:11], v[26:27], -v[30:31]
	s_delay_alu instid0(VALU_DEP_2) | instskip(NEXT) | instid1(VALU_DEP_2)
	v_fma_f64 v[20:21], v[24:25], 2.0, -v[8:9]
	v_fma_f64 v[22:23], v[26:27], 2.0, -v[10:11]
	ds_store_b128 v240, v[20:23]
	ds_store_b128 v240, v[8:11] offset:16
	scratch_load_b32 v24, off, off offset:1020 th:TH_LOAD_LU ; 4-byte Folded Reload
	v_add_f64_e64 v[8:9], v[64:65], -v[72:73]
	v_add_f64_e64 v[10:11], v[66:67], -v[74:75]
	s_delay_alu instid0(VALU_DEP_2) | instskip(NEXT) | instid1(VALU_DEP_2)
	v_fma_f64 v[20:21], v[64:65], 2.0, -v[8:9]
	v_fma_f64 v[22:23], v[66:67], 2.0, -v[10:11]
	s_wait_loadcnt 0x0
	ds_store_b128 v24, v[20:23]
	ds_store_b128 v24, v[8:11] offset:16
	scratch_load_b32 v24, off, off offset:1012 th:TH_LOAD_LU ; 4-byte Folded Reload
	v_add_f64_e64 v[8:9], v[68:69], -v[76:77]
	v_add_f64_e64 v[10:11], v[70:71], -v[78:79]
	s_delay_alu instid0(VALU_DEP_2) | instskip(NEXT) | instid1(VALU_DEP_2)
	v_fma_f64 v[20:21], v[68:69], 2.0, -v[8:9]
	v_fma_f64 v[22:23], v[70:71], 2.0, -v[10:11]
	s_wait_loadcnt 0x0
	;; [unrolled: 9-line block ×10, first 2 shown]
	ds_store_b128 v24, v[20:23]
	ds_store_b128 v24, v[8:11] offset:16
	global_wb scope:SCOPE_SE
	s_wait_dscnt 0x0
	s_barrier_signal -1
	s_barrier_wait -1
	global_inv scope:SCOPE_SE
	ds_load_b128 v[8:11], v242 offset:9984
	s_wait_dscnt 0x0
	v_mul_f64_e32 v[20:21], v[230:231], v[10:11]
	s_delay_alu instid0(VALU_DEP_1) | instskip(SKIP_1) | instid1(VALU_DEP_1)
	v_fma_f64 v[20:21], v[228:229], v[8:9], v[20:21]
	v_mul_f64_e32 v[8:9], v[230:231], v[8:9]
	v_fma_f64 v[22:23], v[228:229], v[10:11], -v[8:9]
	ds_load_b128 v[8:11], v242 offset:10816
	s_wait_dscnt 0x0
	v_mul_f64_e32 v[24:25], v[230:231], v[10:11]
	s_delay_alu instid0(VALU_DEP_1) | instskip(SKIP_1) | instid1(VALU_DEP_1)
	v_fma_f64 v[92:93], v[228:229], v[8:9], v[24:25]
	v_mul_f64_e32 v[8:9], v[230:231], v[8:9]
	v_fma_f64 v[94:95], v[228:229], v[10:11], -v[8:9]
	;; [unrolled: 7-line block ×12, first 2 shown]
	ds_load_b128 v[8:11], v242
	ds_load_b128 v[24:27], v242 offset:832
	ds_load_b128 v[28:31], v242 offset:1664
	ds_load_b128 v[64:67], v242 offset:2496
	ds_load_b128 v[68:71], v242 offset:3328
	ds_load_b128 v[72:75], v242 offset:4160
	ds_load_b128 v[76:79], v242 offset:4992
	ds_load_b128 v[80:83], v242 offset:5824
	ds_load_b128 v[84:87], v242 offset:6656
	ds_load_b128 v[88:91], v242 offset:7488
	ds_load_b128 v[148:151], v242 offset:8320
	ds_load_b128 v[152:155], v242 offset:9152
	global_wb scope:SCOPE_SE
	s_wait_dscnt 0x0
	s_barrier_signal -1
	s_barrier_wait -1
	global_inv scope:SCOPE_SE
	scratch_load_b32 v32, off, off offset:824 th:TH_LOAD_LU ; 4-byte Folded Reload
	v_add_f64_e64 v[228:229], v[76:77], -v[172:173]
	v_add_f64_e64 v[230:231], v[78:79], -v[174:175]
	;; [unrolled: 1-line block ×6, first 2 shown]
	s_delay_alu instid0(VALU_DEP_3) | instskip(NEXT) | instid1(VALU_DEP_3)
	v_fma_f64 v[8:9], v[8:9], 2.0, -v[20:21]
	v_fma_f64 v[10:11], v[10:11], 2.0, -v[22:23]
	s_wait_loadcnt 0x0
	ds_store_b128 v32, v[20:23] offset:32
	ds_store_b128 v32, v[8:11]
	v_add_f64_e64 v[8:9], v[24:25], -v[92:93]
	v_add_f64_e64 v[10:11], v[26:27], -v[94:95]
	;; [unrolled: 1-line block ×4, first 2 shown]
	s_delay_alu instid0(VALU_DEP_4)
	v_fma_f64 v[20:21], v[24:25], 2.0, -v[8:9]
	scratch_load_b32 v24, off, off offset:976 th:TH_LOAD_LU ; 4-byte Folded Reload
	v_fma_f64 v[22:23], v[26:27], 2.0, -v[10:11]
	v_fma_f64 v[196:197], v[148:149], 2.0, -v[92:93]
	;; [unrolled: 1-line block ×3, first 2 shown]
	s_wait_loadcnt 0x0
	ds_store_b128 v24, v[20:23]
	ds_store_b128 v24, v[8:11] offset:32
	scratch_load_b32 v24, off, off offset:972 th:TH_LOAD_LU ; 4-byte Folded Reload
	v_add_f64_e64 v[8:9], v[28:29], -v[156:157]
	v_add_f64_e64 v[10:11], v[30:31], -v[158:159]
	s_delay_alu instid0(VALU_DEP_2) | instskip(NEXT) | instid1(VALU_DEP_2)
	v_fma_f64 v[20:21], v[28:29], 2.0, -v[8:9]
	v_fma_f64 v[22:23], v[30:31], 2.0, -v[10:11]
	s_wait_loadcnt 0x0
	ds_store_b128 v24, v[20:23]
	ds_store_b128 v24, v[8:11] offset:32
	scratch_load_b32 v24, off, off offset:968 th:TH_LOAD_LU ; 4-byte Folded Reload
	v_add_f64_e64 v[8:9], v[64:65], -v[160:161]
	v_add_f64_e64 v[10:11], v[66:67], -v[162:163]
	s_delay_alu instid0(VALU_DEP_2) | instskip(NEXT) | instid1(VALU_DEP_2)
	v_fma_f64 v[20:21], v[64:65], 2.0, -v[8:9]
	v_fma_f64 v[22:23], v[66:67], 2.0, -v[10:11]
	s_wait_loadcnt 0x0
	ds_store_b128 v24, v[20:23]
	ds_store_b128 v24, v[8:11] offset:32
	scratch_load_b32 v24, off, off offset:852 th:TH_LOAD_LU ; 4-byte Folded Reload
	v_add_f64_e64 v[8:9], v[68:69], -v[164:165]
	v_add_f64_e64 v[10:11], v[70:71], -v[166:167]
	s_delay_alu instid0(VALU_DEP_2) | instskip(NEXT) | instid1(VALU_DEP_2)
	v_fma_f64 v[20:21], v[68:69], 2.0, -v[8:9]
	v_fma_f64 v[22:23], v[70:71], 2.0, -v[10:11]
	v_add_f64_e64 v[68:69], v[80:81], -v[176:177]
	v_add_f64_e64 v[70:71], v[82:83], -v[178:179]
	s_wait_loadcnt 0x0
	ds_store_b128 v24, v[20:23]
	ds_store_b128 v24, v[8:11] offset:32
	scratch_load_b32 v24, off, off offset:848 th:TH_LOAD_LU ; 4-byte Folded Reload
	v_add_f64_e64 v[8:9], v[72:73], -v[168:169]
	v_add_f64_e64 v[10:11], v[74:75], -v[170:171]
	v_fma_f64 v[64:65], v[80:81], 2.0, -v[68:69]
	v_fma_f64 v[66:67], v[82:83], 2.0, -v[70:71]
	v_fma_f64 v[80:81], v[88:89], 2.0, -v[188:189]
	v_fma_f64 v[82:83], v[90:91], 2.0, -v[190:191]
	v_fma_f64 v[20:21], v[72:73], 2.0, -v[8:9]
	v_fma_f64 v[22:23], v[74:75], 2.0, -v[10:11]
	s_wait_loadcnt 0x0
	ds_store_b128 v24, v[20:23]
	ds_store_b128 v24, v[8:11] offset:32
	scratch_load_b32 v20, off, off offset:844 th:TH_LOAD_LU ; 4-byte Folded Reload
	v_fma_f64 v[8:9], v[76:77], 2.0, -v[228:229]
	v_fma_f64 v[10:11], v[78:79], 2.0, -v[230:231]
	v_add_f64_e64 v[76:77], v[84:85], -v[180:181]
	v_add_f64_e64 v[78:79], v[86:87], -v[182:183]
	s_wait_loadcnt 0x0
	ds_store_b128 v20, v[8:11]
	ds_store_b128 v20, v[228:231] offset:32
	scratch_load_b32 v8, off, off offset:840 th:TH_LOAD_LU ; 4-byte Folded Reload
	v_fma_f64 v[72:73], v[84:85], 2.0, -v[76:77]
	v_fma_f64 v[74:75], v[86:87], 2.0, -v[78:79]
	v_add_f64_e64 v[84:85], v[152:153], -v[212:213]
	v_add_f64_e64 v[86:87], v[154:155], -v[214:215]
	s_wait_loadcnt 0x0
	ds_store_b128 v8, v[64:67]
	ds_store_b128 v8, v[68:71] offset:32
	scratch_load_b32 v8, off, off offset:836 th:TH_LOAD_LU ; 4-byte Folded Reload
	v_fma_f64 v[88:89], v[152:153], 2.0, -v[84:85]
	v_fma_f64 v[90:91], v[154:155], 2.0, -v[86:87]
	s_wait_loadcnt 0x0
	ds_store_b128 v8, v[72:75]
	ds_store_b128 v8, v[76:79] offset:32
	scratch_load_b32 v8, off, off offset:832 th:TH_LOAD_LU ; 4-byte Folded Reload
	s_wait_loadcnt 0x0
	ds_store_b128 v8, v[80:83]
	ds_store_b128 v8, v[188:191] offset:32
	scratch_load_b32 v8, off, off offset:820 th:TH_LOAD_LU ; 4-byte Folded Reload
	;; [unrolled: 4-line block ×3, first 2 shown]
	s_wait_loadcnt 0x0
	ds_store_b128 v8, v[88:91]
	ds_store_b128 v8, v[84:87] offset:32
	global_wb scope:SCOPE_SE
	s_wait_dscnt 0x0
	s_barrier_signal -1
	s_barrier_wait -1
	global_inv scope:SCOPE_SE
	ds_load_b128 v[152:155], v242
	ds_load_b128 v[220:223], v242 offset:1536
	ds_load_b128 v[216:219], v242 offset:3072
	;; [unrolled: 1-line block ×12, first 2 shown]
	s_and_saveexec_b32 s2, vcc_lo
	s_cbranch_execz .LBB0_7
; %bb.6:
	ds_load_b128 v[228:231], v242 offset:832
	ds_load_b128 v[64:67], v242 offset:2368
	;; [unrolled: 1-line block ×12, first 2 shown]
	s_wait_dscnt 0x0
	scratch_store_b128 off, v[8:11], off offset:24 ; 16-byte Folded Spill
	ds_load_b128 v[8:11], v242 offset:19264
	s_wait_dscnt 0x0
	scratch_store_b128 off, v[8:11], off offset:8 ; 16-byte Folded Spill
.LBB0_7:
	s_wait_alu 0xfffe
	s_or_b32 exec_lo, exec_lo, s2
	s_clause 0x2
	scratch_load_b128 v[96:99], off, off offset:1032
	scratch_load_b128 v[100:103], off, off offset:1048
	;; [unrolled: 1-line block ×3, first 2 shown]
	s_mov_b32 s20, 0x2ef20147
	s_mov_b32 s21, 0xbfedeba7
	;; [unrolled: 1-line block ×25, first 2 shown]
	s_wait_alu 0xfffe
	s_mov_b32 s30, s28
	s_mov_b32 s39, 0x3fea55e2
	;; [unrolled: 1-line block ×10, first 2 shown]
	global_wb scope:SCOPE_SE
	s_wait_storecnt 0x0
	s_wait_loadcnt_dscnt 0x0
	s_barrier_signal -1
	s_barrier_wait -1
	global_inv scope:SCOPE_SE
	v_mul_f64_e32 v[8:9], v[98:99], v[222:223]
	v_mul_f64_e32 v[10:11], v[98:99], v[220:221]
	v_mul_f64_e32 v[20:21], v[106:107], v[218:219]
	v_mul_f64_e32 v[22:23], v[102:103], v[148:149]
	s_delay_alu instid0(VALU_DEP_4) | instskip(NEXT) | instid1(VALU_DEP_4)
	v_fma_f64 v[8:9], v[96:97], v[220:221], v[8:9]
	v_fma_f64 v[10:11], v[96:97], v[222:223], -v[10:11]
	s_delay_alu instid0(VALU_DEP_4) | instskip(SKIP_4) | instid1(VALU_DEP_4)
	v_fma_f64 v[220:221], v[104:105], v[216:217], v[20:21]
	v_mul_f64_e32 v[20:21], v[106:107], v[216:217]
	v_fma_f64 v[22:23], v[100:101], v[150:151], -v[22:23]
	v_add_f64_e32 v[24:25], v[152:153], v[8:9]
	v_add_f64_e32 v[26:27], v[154:155], v[10:11]
	v_fma_f64 v[218:219], v[104:105], v[218:219], -v[20:21]
	v_mul_f64_e32 v[20:21], v[114:115], v[214:215]
	s_delay_alu instid0(VALU_DEP_4) | instskip(NEXT) | instid1(VALU_DEP_3)
	v_add_f64_e32 v[24:25], v[24:25], v[220:221]
	v_add_f64_e32 v[26:27], v[26:27], v[218:219]
	s_delay_alu instid0(VALU_DEP_3) | instskip(SKIP_1) | instid1(VALU_DEP_2)
	v_fma_f64 v[216:217], v[112:113], v[212:213], v[20:21]
	v_mul_f64_e32 v[20:21], v[114:115], v[212:213]
	v_add_f64_e32 v[24:25], v[24:25], v[216:217]
	s_delay_alu instid0(VALU_DEP_2) | instskip(SKIP_1) | instid1(VALU_DEP_2)
	v_fma_f64 v[214:215], v[112:113], v[214:215], -v[20:21]
	v_mul_f64_e32 v[20:21], v[122:123], v[186:187]
	v_add_f64_e32 v[26:27], v[26:27], v[214:215]
	s_delay_alu instid0(VALU_DEP_2) | instskip(SKIP_1) | instid1(VALU_DEP_2)
	v_fma_f64 v[212:213], v[120:121], v[184:185], v[20:21]
	v_mul_f64_e32 v[20:21], v[122:123], v[184:185]
	v_add_f64_e32 v[24:25], v[24:25], v[212:213]
	s_delay_alu instid0(VALU_DEP_2) | instskip(SKIP_1) | instid1(VALU_DEP_2)
	v_fma_f64 v[186:187], v[120:121], v[186:187], -v[20:21]
	v_mul_f64_e32 v[20:21], v[130:131], v[182:183]
	v_add_f64_e32 v[26:27], v[26:27], v[186:187]
	s_delay_alu instid0(VALU_DEP_2) | instskip(SKIP_1) | instid1(VALU_DEP_2)
	v_fma_f64 v[184:185], v[128:129], v[180:181], v[20:21]
	v_mul_f64_e32 v[20:21], v[130:131], v[180:181]
	v_add_f64_e32 v[24:25], v[24:25], v[184:185]
	s_delay_alu instid0(VALU_DEP_2) | instskip(SKIP_1) | instid1(VALU_DEP_2)
	v_fma_f64 v[182:183], v[128:129], v[182:183], -v[20:21]
	v_mul_f64_e32 v[20:21], v[142:143], v[178:179]
	v_add_f64_e32 v[26:27], v[26:27], v[182:183]
	s_delay_alu instid0(VALU_DEP_2) | instskip(SKIP_1) | instid1(VALU_DEP_2)
	v_fma_f64 v[180:181], v[140:141], v[176:177], v[20:21]
	v_mul_f64_e32 v[20:21], v[142:143], v[176:177]
	v_add_f64_e32 v[24:25], v[24:25], v[180:181]
	s_delay_alu instid0(VALU_DEP_2) | instskip(SKIP_1) | instid1(VALU_DEP_2)
	v_fma_f64 v[176:177], v[140:141], v[178:179], -v[20:21]
	v_mul_f64_e32 v[20:21], v[138:139], v[174:175]
	v_add_f64_e32 v[26:27], v[26:27], v[176:177]
	s_delay_alu instid0(VALU_DEP_2) | instskip(SKIP_1) | instid1(VALU_DEP_2)
	v_fma_f64 v[178:179], v[136:137], v[172:173], v[20:21]
	v_mul_f64_e32 v[20:21], v[138:139], v[172:173]
	v_add_f64_e32 v[24:25], v[24:25], v[178:179]
	s_delay_alu instid0(VALU_DEP_2) | instskip(SKIP_1) | instid1(VALU_DEP_2)
	v_fma_f64 v[172:173], v[136:137], v[174:175], -v[20:21]
	v_mul_f64_e32 v[20:21], v[134:135], v[170:171]
	v_add_f64_e32 v[26:27], v[26:27], v[172:173]
	s_delay_alu instid0(VALU_DEP_2) | instskip(SKIP_1) | instid1(VALU_DEP_2)
	v_fma_f64 v[174:175], v[132:133], v[168:169], v[20:21]
	v_mul_f64_e32 v[20:21], v[134:135], v[168:169]
	v_add_f64_e32 v[24:25], v[24:25], v[174:175]
	s_delay_alu instid0(VALU_DEP_2) | instskip(SKIP_1) | instid1(VALU_DEP_2)
	v_fma_f64 v[168:169], v[132:133], v[170:171], -v[20:21]
	v_mul_f64_e32 v[20:21], v[126:127], v[166:167]
	v_add_f64_e32 v[26:27], v[26:27], v[168:169]
	s_delay_alu instid0(VALU_DEP_2) | instskip(SKIP_1) | instid1(VALU_DEP_2)
	v_fma_f64 v[170:171], v[124:125], v[164:165], v[20:21]
	v_mul_f64_e32 v[20:21], v[126:127], v[164:165]
	v_add_f64_e32 v[24:25], v[24:25], v[170:171]
	s_delay_alu instid0(VALU_DEP_2) | instskip(SKIP_1) | instid1(VALU_DEP_2)
	v_fma_f64 v[164:165], v[124:125], v[166:167], -v[20:21]
	v_mul_f64_e32 v[20:21], v[118:119], v[162:163]
	v_add_f64_e32 v[26:27], v[26:27], v[164:165]
	s_delay_alu instid0(VALU_DEP_2) | instskip(SKIP_1) | instid1(VALU_DEP_2)
	v_fma_f64 v[166:167], v[116:117], v[160:161], v[20:21]
	v_mul_f64_e32 v[20:21], v[118:119], v[160:161]
	v_add_f64_e32 v[24:25], v[24:25], v[166:167]
	s_delay_alu instid0(VALU_DEP_2) | instskip(SKIP_1) | instid1(VALU_DEP_2)
	v_fma_f64 v[160:161], v[116:117], v[162:163], -v[20:21]
	v_mul_f64_e32 v[20:21], v[110:111], v[158:159]
	v_add_f64_e32 v[26:27], v[26:27], v[160:161]
	s_delay_alu instid0(VALU_DEP_2) | instskip(SKIP_1) | instid1(VALU_DEP_2)
	v_fma_f64 v[162:163], v[108:109], v[156:157], v[20:21]
	v_mul_f64_e32 v[20:21], v[110:111], v[156:157]
	v_add_f64_e32 v[24:25], v[24:25], v[162:163]
	s_delay_alu instid0(VALU_DEP_2) | instskip(SKIP_2) | instid1(VALU_DEP_3)
	v_fma_f64 v[156:157], v[108:109], v[158:159], -v[20:21]
	v_mul_f64_e32 v[20:21], v[102:103], v[150:151]
	v_add_f64_e64 v[46:47], v[220:221], -v[162:163]
	v_add_f64_e32 v[26:27], v[26:27], v[156:157]
	s_delay_alu instid0(VALU_DEP_3) | instskip(NEXT) | instid1(VALU_DEP_2)
	v_fma_f64 v[20:21], v[100:101], v[148:149], v[20:21]
	v_add_f64_e32 v[150:151], v[26:27], v[22:23]
	v_add_f64_e32 v[26:27], v[10:11], v[22:23]
	v_add_f64_e64 v[10:11], v[10:11], -v[22:23]
	s_delay_alu instid0(VALU_DEP_4)
	v_add_f64_e32 v[148:149], v[24:25], v[20:21]
	v_add_f64_e32 v[24:25], v[8:9], v[20:21]
	v_add_f64_e64 v[8:9], v[8:9], -v[20:21]
	v_mul_f64_e32 v[28:29], s[26:27], v[26:27]
	v_mul_f64_e32 v[252:253], s[20:21], v[10:11]
	;; [unrolled: 1-line block ×10, first 2 shown]
	s_wait_alu 0xfffe
	v_fma_f64 v[30:31], v[8:9], s[30:31], v[28:29]
	v_fma_f64 v[254:255], v[24:25], s[10:11], v[252:253]
	v_fma_f64 v[34:35], v[24:25], s[10:11], -v[252:253]
	v_mul_f64_e32 v[252:253], s[22:23], v[10:11]
	v_mul_f64_e32 v[10:11], s[24:25], v[10:11]
	v_fma_f64 v[22:23], v[24:25], s[26:27], v[20:21]
	v_fma_f64 v[20:21], v[24:25], s[26:27], -v[20:21]
	v_fma_f64 v[222:223], v[24:25], s[2:3], v[158:159]
	v_fma_f64 v[158:159], v[24:25], s[2:3], -v[158:159]
	;; [unrolled: 2-line block ×3, first 2 shown]
	v_fma_f64 v[28:29], v[8:9], s[28:29], v[28:29]
	v_fma_f64 v[234:235], v[8:9], s[38:39], v[232:233]
	;; [unrolled: 1-line block ×11, first 2 shown]
	v_add_f64_e32 v[26:27], v[218:219], v[156:157]
	v_add_f64_e32 v[30:31], v[154:155], v[30:31]
	;; [unrolled: 1-line block ×4, first 2 shown]
	v_fma_f64 v[36:37], v[24:25], s[12:13], v[252:253]
	v_fma_f64 v[42:43], v[24:25], s[12:13], -v[252:253]
	v_fma_f64 v[252:253], v[24:25], s[14:15], v[10:11]
	v_fma_f64 v[10:11], v[24:25], s[14:15], -v[10:11]
	v_add_f64_e32 v[22:23], v[152:153], v[22:23]
	v_add_f64_e32 v[20:21], v[152:153], v[20:21]
	;; [unrolled: 1-line block ×22, first 2 shown]
	v_add_f64_e64 v[152:153], v[218:219], -v[156:157]
	s_delay_alu instid0(VALU_DEP_1) | instskip(NEXT) | instid1(VALU_DEP_1)
	v_mul_f64_e32 v[154:155], s[16:17], v[152:153]
	v_fma_f64 v[156:157], v[24:25], s[2:3], v[154:155]
	v_fma_f64 v[154:155], v[24:25], s[2:3], -v[154:155]
	s_delay_alu instid0(VALU_DEP_2) | instskip(SKIP_1) | instid1(VALU_DEP_3)
	v_add_f64_e32 v[22:23], v[156:157], v[22:23]
	v_mul_f64_e32 v[156:157], s[2:3], v[26:27]
	v_add_f64_e32 v[20:21], v[154:155], v[20:21]
	s_delay_alu instid0(VALU_DEP_2) | instskip(SKIP_1) | instid1(VALU_DEP_2)
	v_fma_f64 v[154:155], v[46:47], s[16:17], v[156:157]
	v_fma_f64 v[162:163], v[46:47], s[38:39], v[156:157]
	v_add_f64_e32 v[28:29], v[154:155], v[28:29]
	v_mul_f64_e32 v[154:155], s[20:21], v[152:153]
	s_delay_alu instid0(VALU_DEP_3) | instskip(SKIP_1) | instid1(VALU_DEP_3)
	v_add_f64_e32 v[30:31], v[162:163], v[30:31]
	v_mul_f64_e32 v[162:163], s[10:11], v[26:27]
	v_fma_f64 v[156:157], v[24:25], s[10:11], v[154:155]
	v_fma_f64 v[154:155], v[24:25], s[10:11], -v[154:155]
	s_delay_alu instid0(VALU_DEP_3) | instskip(NEXT) | instid1(VALU_DEP_3)
	v_fma_f64 v[218:219], v[46:47], s[40:41], v[162:163]
	v_add_f64_e32 v[156:157], v[156:157], v[222:223]
	s_delay_alu instid0(VALU_DEP_3)
	v_add_f64_e32 v[154:155], v[154:155], v[158:159]
	v_fma_f64 v[158:159], v[46:47], s[20:21], v[162:163]
	v_mul_f64_e32 v[162:163], s[24:25], v[152:153]
	v_add_f64_e32 v[218:219], v[218:219], v[234:235]
	v_mul_f64_e32 v[222:223], s[14:15], v[26:27]
	v_mul_f64_e32 v[234:235], s[36:37], v[152:153]
	v_add_f64_e32 v[158:159], v[158:159], v[232:233]
	v_fma_f64 v[220:221], v[24:25], s[14:15], v[162:163]
	v_fma_f64 v[162:163], v[24:25], s[14:15], -v[162:163]
	v_fma_f64 v[232:233], v[46:47], s[42:43], v[222:223]
	v_fma_f64 v[222:223], v[46:47], s[24:25], v[222:223]
	s_delay_alu instid0(VALU_DEP_4) | instskip(NEXT) | instid1(VALU_DEP_4)
	v_add_f64_e32 v[220:221], v[220:221], v[238:239]
	v_add_f64_e32 v[162:163], v[162:163], v[236:237]
	v_fma_f64 v[236:237], v[24:25], s[12:13], v[234:235]
	v_mul_f64_e32 v[238:239], s[12:13], v[26:27]
	v_fma_f64 v[234:235], v[24:25], s[12:13], -v[234:235]
	v_add_f64_e32 v[222:223], v[222:223], v[248:249]
	v_add_f64_e32 v[232:233], v[232:233], v[250:251]
	;; [unrolled: 1-line block ×3, first 2 shown]
	v_fma_f64 v[248:249], v[46:47], s[22:23], v[238:239]
	v_add_f64_e32 v[34:35], v[234:235], v[34:35]
	v_fma_f64 v[234:235], v[46:47], s[36:37], v[238:239]
	v_mul_f64_e32 v[238:239], s[34:35], v[152:153]
	v_mul_f64_e32 v[152:153], s[30:31], v[152:153]
	v_add_f64_e32 v[32:33], v[248:249], v[32:33]
	s_delay_alu instid0(VALU_DEP_4) | instskip(NEXT) | instid1(VALU_DEP_4)
	v_add_f64_e32 v[234:235], v[234:235], v[240:241]
	v_fma_f64 v[240:241], v[24:25], s[8:9], v[238:239]
	v_fma_f64 v[238:239], v[24:25], s[8:9], -v[238:239]
	s_delay_alu instid0(VALU_DEP_2) | instskip(SKIP_1) | instid1(VALU_DEP_3)
	v_add_f64_e32 v[36:37], v[240:241], v[36:37]
	v_mul_f64_e32 v[240:241], s[8:9], v[26:27]
	v_add_f64_e32 v[42:43], v[238:239], v[42:43]
	v_mul_f64_e32 v[26:27], s[26:27], v[26:27]
	s_delay_alu instid0(VALU_DEP_3) | instskip(SKIP_1) | instid1(VALU_DEP_3)
	v_fma_f64 v[238:239], v[46:47], s[34:35], v[240:241]
	v_fma_f64 v[248:249], v[46:47], s[18:19], v[240:241]
	;; [unrolled: 1-line block ×3, first 2 shown]
	s_delay_alu instid0(VALU_DEP_3)
	v_add_f64_e32 v[38:39], v[238:239], v[38:39]
	v_fma_f64 v[238:239], v[24:25], s[26:27], v[152:153]
	v_fma_f64 v[24:25], v[24:25], s[26:27], -v[152:153]
	v_add_f64_e64 v[152:153], v[214:215], -v[160:161]
	v_add_f64_e32 v[44:45], v[240:241], v[44:45]
	v_add_f64_e32 v[40:41], v[248:249], v[40:41]
	v_add_f64_e32 v[238:239], v[238:239], v[252:253]
	v_add_f64_e32 v[10:11], v[24:25], v[10:11]
	v_fma_f64 v[24:25], v[46:47], s[30:31], v[26:27]
	v_add_f64_e32 v[26:27], v[214:215], v[160:161]
	v_mul_f64_e32 v[160:161], s[18:19], v[152:153]
	v_add_f64_e64 v[46:47], v[216:217], -v[166:167]
	s_delay_alu instid0(VALU_DEP_4) | instskip(SKIP_2) | instid1(VALU_DEP_2)
	v_add_f64_e32 v[8:9], v[24:25], v[8:9]
	v_add_f64_e32 v[24:25], v[216:217], v[166:167]
	v_mul_f64_e32 v[216:217], s[10:11], v[26:27]
	v_fma_f64 v[166:167], v[24:25], s[8:9], v[160:161]
	v_fma_f64 v[160:161], v[24:25], s[8:9], -v[160:161]
	s_delay_alu instid0(VALU_DEP_2) | instskip(SKIP_1) | instid1(VALU_DEP_3)
	v_add_f64_e32 v[22:23], v[166:167], v[22:23]
	v_mul_f64_e32 v[166:167], s[8:9], v[26:27]
	v_add_f64_e32 v[20:21], v[160:161], v[20:21]
	s_delay_alu instid0(VALU_DEP_2) | instskip(SKIP_1) | instid1(VALU_DEP_2)
	v_fma_f64 v[160:161], v[46:47], s[18:19], v[166:167]
	v_fma_f64 v[214:215], v[46:47], s[34:35], v[166:167]
	v_add_f64_e32 v[28:29], v[160:161], v[28:29]
	v_mul_f64_e32 v[160:161], s[24:25], v[152:153]
	s_delay_alu instid0(VALU_DEP_3) | instskip(NEXT) | instid1(VALU_DEP_2)
	v_add_f64_e32 v[30:31], v[214:215], v[30:31]
	v_fma_f64 v[166:167], v[24:25], s[14:15], v[160:161]
	v_fma_f64 v[160:161], v[24:25], s[14:15], -v[160:161]
	s_delay_alu instid0(VALU_DEP_2) | instskip(SKIP_1) | instid1(VALU_DEP_3)
	v_add_f64_e32 v[156:157], v[166:167], v[156:157]
	v_mul_f64_e32 v[166:167], s[14:15], v[26:27]
	v_add_f64_e32 v[154:155], v[160:161], v[154:155]
	s_delay_alu instid0(VALU_DEP_2) | instskip(SKIP_1) | instid1(VALU_DEP_2)
	v_fma_f64 v[160:161], v[46:47], s[24:25], v[166:167]
	v_fma_f64 v[214:215], v[46:47], s[42:43], v[166:167]
	v_add_f64_e32 v[158:159], v[160:161], v[158:159]
	v_mul_f64_e32 v[160:161], s[40:41], v[152:153]
	s_delay_alu instid0(VALU_DEP_3) | instskip(SKIP_1) | instid1(VALU_DEP_3)
	v_add_f64_e32 v[214:215], v[214:215], v[218:219]
	v_fma_f64 v[218:219], v[46:47], s[20:21], v[216:217]
	v_fma_f64 v[166:167], v[24:25], s[10:11], v[160:161]
	v_fma_f64 v[160:161], v[24:25], s[10:11], -v[160:161]
	s_delay_alu instid0(VALU_DEP_3) | instskip(NEXT) | instid1(VALU_DEP_3)
	v_add_f64_e32 v[218:219], v[218:219], v[232:233]
	v_add_f64_e32 v[166:167], v[166:167], v[220:221]
	s_delay_alu instid0(VALU_DEP_3) | instskip(SKIP_2) | instid1(VALU_DEP_2)
	v_add_f64_e32 v[160:161], v[160:161], v[162:163]
	v_fma_f64 v[162:163], v[46:47], s[40:41], v[216:217]
	v_mul_f64_e32 v[216:217], s[30:31], v[152:153]
	v_add_f64_e32 v[162:163], v[162:163], v[222:223]
	s_delay_alu instid0(VALU_DEP_2) | instskip(SKIP_2) | instid1(VALU_DEP_3)
	v_fma_f64 v[220:221], v[24:25], s[26:27], v[216:217]
	v_mul_f64_e32 v[222:223], s[26:27], v[26:27]
	v_fma_f64 v[216:217], v[24:25], s[26:27], -v[216:217]
	v_add_f64_e32 v[220:221], v[220:221], v[236:237]
	s_delay_alu instid0(VALU_DEP_3) | instskip(NEXT) | instid1(VALU_DEP_3)
	v_fma_f64 v[232:233], v[46:47], s[28:29], v[222:223]
	v_add_f64_e32 v[34:35], v[216:217], v[34:35]
	v_fma_f64 v[216:217], v[46:47], s[30:31], v[222:223]
	v_mul_f64_e32 v[222:223], s[16:17], v[152:153]
	v_mul_f64_e32 v[152:153], s[22:23], v[152:153]
	v_add_f64_e32 v[32:33], v[232:233], v[32:33]
	s_delay_alu instid0(VALU_DEP_4) | instskip(NEXT) | instid1(VALU_DEP_4)
	v_add_f64_e32 v[216:217], v[216:217], v[234:235]
	v_fma_f64 v[232:233], v[24:25], s[2:3], v[222:223]
	v_fma_f64 v[222:223], v[24:25], s[2:3], -v[222:223]
	s_delay_alu instid0(VALU_DEP_2) | instskip(SKIP_1) | instid1(VALU_DEP_3)
	v_add_f64_e32 v[36:37], v[232:233], v[36:37]
	v_mul_f64_e32 v[232:233], s[2:3], v[26:27]
	v_add_f64_e32 v[42:43], v[222:223], v[42:43]
	v_mul_f64_e32 v[26:27], s[12:13], v[26:27]
	s_delay_alu instid0(VALU_DEP_3) | instskip(SKIP_1) | instid1(VALU_DEP_3)
	v_fma_f64 v[222:223], v[46:47], s[16:17], v[232:233]
	v_fma_f64 v[234:235], v[46:47], s[38:39], v[232:233]
	;; [unrolled: 1-line block ×3, first 2 shown]
	s_delay_alu instid0(VALU_DEP_3)
	v_add_f64_e32 v[38:39], v[222:223], v[38:39]
	v_fma_f64 v[222:223], v[24:25], s[12:13], v[152:153]
	v_fma_f64 v[24:25], v[24:25], s[12:13], -v[152:153]
	v_add_f64_e64 v[152:153], v[186:187], -v[164:165]
	v_add_f64_e32 v[44:45], v[232:233], v[44:45]
	v_add_f64_e32 v[40:41], v[234:235], v[40:41]
	;; [unrolled: 1-line block ×4, first 2 shown]
	v_fma_f64 v[24:25], v[46:47], s[22:23], v[26:27]
	v_add_f64_e32 v[26:27], v[186:187], v[164:165]
	v_mul_f64_e32 v[164:165], s[20:21], v[152:153]
	v_add_f64_e64 v[46:47], v[212:213], -v[170:171]
	s_delay_alu instid0(VALU_DEP_4) | instskip(SKIP_1) | instid1(VALU_DEP_1)
	v_add_f64_e32 v[8:9], v[24:25], v[8:9]
	v_add_f64_e32 v[24:25], v[212:213], v[170:171]
	v_fma_f64 v[170:171], v[24:25], s[10:11], v[164:165]
	v_fma_f64 v[164:165], v[24:25], s[10:11], -v[164:165]
	s_delay_alu instid0(VALU_DEP_2) | instskip(SKIP_1) | instid1(VALU_DEP_3)
	v_add_f64_e32 v[22:23], v[170:171], v[22:23]
	v_mul_f64_e32 v[170:171], s[10:11], v[26:27]
	v_add_f64_e32 v[20:21], v[164:165], v[20:21]
	s_delay_alu instid0(VALU_DEP_2) | instskip(SKIP_1) | instid1(VALU_DEP_2)
	v_fma_f64 v[164:165], v[46:47], s[20:21], v[170:171]
	v_fma_f64 v[186:187], v[46:47], s[40:41], v[170:171]
	v_add_f64_e32 v[28:29], v[164:165], v[28:29]
	v_mul_f64_e32 v[164:165], s[36:37], v[152:153]
	s_delay_alu instid0(VALU_DEP_3) | instskip(NEXT) | instid1(VALU_DEP_2)
	v_add_f64_e32 v[30:31], v[186:187], v[30:31]
	v_fma_f64 v[170:171], v[24:25], s[12:13], v[164:165]
	v_fma_f64 v[164:165], v[24:25], s[12:13], -v[164:165]
	s_delay_alu instid0(VALU_DEP_2) | instskip(SKIP_1) | instid1(VALU_DEP_3)
	v_add_f64_e32 v[156:157], v[170:171], v[156:157]
	v_mul_f64_e32 v[170:171], s[12:13], v[26:27]
	v_add_f64_e32 v[154:155], v[164:165], v[154:155]
	s_delay_alu instid0(VALU_DEP_2) | instskip(SKIP_1) | instid1(VALU_DEP_2)
	v_fma_f64 v[164:165], v[46:47], s[36:37], v[170:171]
	v_fma_f64 v[186:187], v[46:47], s[22:23], v[170:171]
	v_add_f64_e32 v[158:159], v[164:165], v[158:159]
	v_mul_f64_e32 v[164:165], s[30:31], v[152:153]
	s_delay_alu instid0(VALU_DEP_3) | instskip(SKIP_1) | instid1(VALU_DEP_3)
	v_add_f64_e32 v[186:187], v[186:187], v[214:215]
	v_mul_f64_e32 v[214:215], s[8:9], v[26:27]
	v_fma_f64 v[170:171], v[24:25], s[26:27], v[164:165]
	v_fma_f64 v[164:165], v[24:25], s[26:27], -v[164:165]
	s_delay_alu instid0(VALU_DEP_2) | instskip(SKIP_1) | instid1(VALU_DEP_3)
	v_add_f64_e32 v[166:167], v[170:171], v[166:167]
	v_mul_f64_e32 v[170:171], s[26:27], v[26:27]
	v_add_f64_e32 v[160:161], v[164:165], v[160:161]
	s_delay_alu instid0(VALU_DEP_2) | instskip(SKIP_1) | instid1(VALU_DEP_2)
	v_fma_f64 v[164:165], v[46:47], s[30:31], v[170:171]
	v_fma_f64 v[212:213], v[46:47], s[28:29], v[170:171]
	v_add_f64_e32 v[162:163], v[164:165], v[162:163]
	v_mul_f64_e32 v[164:165], s[18:19], v[152:153]
	s_delay_alu instid0(VALU_DEP_3) | instskip(SKIP_1) | instid1(VALU_DEP_3)
	v_add_f64_e32 v[212:213], v[212:213], v[218:219]
	v_fma_f64 v[218:219], v[46:47], s[34:35], v[214:215]
	v_fma_f64 v[170:171], v[24:25], s[8:9], v[164:165]
	v_fma_f64 v[164:165], v[24:25], s[8:9], -v[164:165]
	s_delay_alu instid0(VALU_DEP_3) | instskip(NEXT) | instid1(VALU_DEP_3)
	v_add_f64_e32 v[32:33], v[218:219], v[32:33]
	v_add_f64_e32 v[170:171], v[170:171], v[220:221]
	s_delay_alu instid0(VALU_DEP_3) | instskip(SKIP_3) | instid1(VALU_DEP_3)
	v_add_f64_e32 v[34:35], v[164:165], v[34:35]
	v_fma_f64 v[164:165], v[46:47], s[18:19], v[214:215]
	v_mul_f64_e32 v[214:215], s[42:43], v[152:153]
	v_mul_f64_e32 v[152:153], s[38:39], v[152:153]
	v_add_f64_e32 v[164:165], v[164:165], v[216:217]
	s_delay_alu instid0(VALU_DEP_3) | instskip(SKIP_1) | instid1(VALU_DEP_2)
	v_fma_f64 v[216:217], v[24:25], s[14:15], v[214:215]
	v_fma_f64 v[214:215], v[24:25], s[14:15], -v[214:215]
	v_add_f64_e32 v[36:37], v[216:217], v[36:37]
	v_mul_f64_e32 v[216:217], s[14:15], v[26:27]
	s_delay_alu instid0(VALU_DEP_3) | instskip(SKIP_1) | instid1(VALU_DEP_3)
	v_add_f64_e32 v[42:43], v[214:215], v[42:43]
	v_mul_f64_e32 v[26:27], s[2:3], v[26:27]
	v_fma_f64 v[214:215], v[46:47], s[42:43], v[216:217]
	v_fma_f64 v[218:219], v[46:47], s[24:25], v[216:217]
	s_delay_alu instid0(VALU_DEP_3) | instskip(NEXT) | instid1(VALU_DEP_3)
	v_fma_f64 v[216:217], v[46:47], s[16:17], v[26:27]
	v_add_f64_e32 v[38:39], v[214:215], v[38:39]
	v_fma_f64 v[214:215], v[24:25], s[2:3], v[152:153]
	v_fma_f64 v[24:25], v[24:25], s[2:3], -v[152:153]
	v_add_f64_e64 v[152:153], v[182:183], -v[168:169]
	v_add_f64_e32 v[44:45], v[216:217], v[44:45]
	v_add_f64_e32 v[40:41], v[218:219], v[40:41]
	v_add_f64_e32 v[214:215], v[214:215], v[222:223]
	v_add_f64_e32 v[10:11], v[24:25], v[10:11]
	v_fma_f64 v[24:25], v[46:47], s[38:39], v[26:27]
	v_add_f64_e32 v[26:27], v[182:183], v[168:169]
	v_mul_f64_e32 v[168:169], s[22:23], v[152:153]
	v_add_f64_e64 v[46:47], v[184:185], -v[174:175]
	s_delay_alu instid0(VALU_DEP_4) | instskip(SKIP_1) | instid1(VALU_DEP_1)
	v_add_f64_e32 v[8:9], v[24:25], v[8:9]
	v_add_f64_e32 v[24:25], v[184:185], v[174:175]
	v_fma_f64 v[174:175], v[24:25], s[12:13], v[168:169]
	v_fma_f64 v[168:169], v[24:25], s[12:13], -v[168:169]
	s_delay_alu instid0(VALU_DEP_2) | instskip(SKIP_1) | instid1(VALU_DEP_3)
	v_add_f64_e32 v[22:23], v[174:175], v[22:23]
	v_mul_f64_e32 v[174:175], s[12:13], v[26:27]
	v_add_f64_e32 v[20:21], v[168:169], v[20:21]
	s_delay_alu instid0(VALU_DEP_2) | instskip(SKIP_1) | instid1(VALU_DEP_2)
	v_fma_f64 v[168:169], v[46:47], s[22:23], v[174:175]
	v_fma_f64 v[182:183], v[46:47], s[36:37], v[174:175]
	v_add_f64_e32 v[28:29], v[168:169], v[28:29]
	v_mul_f64_e32 v[168:169], s[34:35], v[152:153]
	s_delay_alu instid0(VALU_DEP_3) | instskip(SKIP_1) | instid1(VALU_DEP_3)
	v_add_f64_e32 v[30:31], v[182:183], v[30:31]
	v_add_f64_e32 v[182:183], v[180:181], v[178:179]
	v_fma_f64 v[174:175], v[24:25], s[8:9], v[168:169]
	v_fma_f64 v[168:169], v[24:25], s[8:9], -v[168:169]
	s_delay_alu instid0(VALU_DEP_2) | instskip(SKIP_1) | instid1(VALU_DEP_3)
	v_add_f64_e32 v[216:217], v[174:175], v[156:157]
	v_mul_f64_e32 v[156:157], s[8:9], v[26:27]
	v_add_f64_e32 v[218:219], v[168:169], v[154:155]
	s_delay_alu instid0(VALU_DEP_2) | instskip(SKIP_1) | instid1(VALU_DEP_2)
	v_fma_f64 v[154:155], v[46:47], s[34:35], v[156:157]
	v_fma_f64 v[174:175], v[46:47], s[18:19], v[156:157]
	v_add_f64_e32 v[220:221], v[154:155], v[158:159]
	v_mul_f64_e32 v[154:155], s[16:17], v[152:153]
	s_delay_alu instid0(VALU_DEP_3) | instskip(SKIP_1) | instid1(VALU_DEP_3)
	v_add_f64_e32 v[186:187], v[174:175], v[186:187]
	v_add_f64_e64 v[174:175], v[180:181], -v[178:179]
	v_fma_f64 v[156:157], v[24:25], s[2:3], v[154:155]
	v_fma_f64 v[154:155], v[24:25], s[2:3], -v[154:155]
	s_delay_alu instid0(VALU_DEP_2) | instskip(SKIP_1) | instid1(VALU_DEP_3)
	v_add_f64_e32 v[222:223], v[156:157], v[166:167]
	v_mul_f64_e32 v[156:157], s[2:3], v[26:27]
	v_add_f64_e32 v[232:233], v[154:155], v[160:161]
	s_delay_alu instid0(VALU_DEP_2) | instskip(SKIP_1) | instid1(VALU_DEP_2)
	v_fma_f64 v[154:155], v[46:47], s[16:17], v[156:157]
	v_fma_f64 v[158:159], v[46:47], s[38:39], v[156:157]
	v_add_f64_e32 v[234:235], v[154:155], v[162:163]
	v_mul_f64_e32 v[154:155], s[42:43], v[152:153]
	s_delay_alu instid0(VALU_DEP_3) | instskip(NEXT) | instid1(VALU_DEP_2)
	v_add_f64_e32 v[212:213], v[158:159], v[212:213]
	v_fma_f64 v[156:157], v[24:25], s[14:15], v[154:155]
	v_fma_f64 v[154:155], v[24:25], s[14:15], -v[154:155]
	s_delay_alu instid0(VALU_DEP_2) | instskip(SKIP_1) | instid1(VALU_DEP_3)
	v_add_f64_e32 v[236:237], v[156:157], v[170:171]
	v_mul_f64_e32 v[156:157], s[14:15], v[26:27]
	v_add_f64_e32 v[34:35], v[154:155], v[34:35]
	s_delay_alu instid0(VALU_DEP_2) | instskip(SKIP_1) | instid1(VALU_DEP_2)
	v_fma_f64 v[154:155], v[46:47], s[42:43], v[156:157]
	v_fma_f64 v[158:159], v[46:47], s[24:25], v[156:157]
	v_add_f64_e32 v[238:239], v[154:155], v[164:165]
	v_mul_f64_e32 v[154:155], s[30:31], v[152:153]
	v_mul_f64_e32 v[152:153], s[20:21], v[152:153]
	s_delay_alu instid0(VALU_DEP_4) | instskip(NEXT) | instid1(VALU_DEP_3)
	v_add_f64_e32 v[32:33], v[158:159], v[32:33]
	v_fma_f64 v[156:157], v[24:25], s[26:27], v[154:155]
	v_fma_f64 v[154:155], v[24:25], s[26:27], -v[154:155]
	s_delay_alu instid0(VALU_DEP_2) | instskip(SKIP_1) | instid1(VALU_DEP_3)
	v_add_f64_e32 v[36:37], v[156:157], v[36:37]
	v_mul_f64_e32 v[156:157], s[26:27], v[26:27]
	v_add_f64_e32 v[42:43], v[154:155], v[42:43]
	v_mul_f64_e32 v[26:27], s[10:11], v[26:27]
	s_delay_alu instid0(VALU_DEP_3) | instskip(SKIP_1) | instid1(VALU_DEP_2)
	v_fma_f64 v[154:155], v[46:47], s[30:31], v[156:157]
	v_fma_f64 v[158:159], v[46:47], s[28:29], v[156:157]
	v_add_f64_e32 v[38:39], v[154:155], v[38:39]
	v_fma_f64 v[154:155], v[24:25], s[10:11], v[152:153]
	v_fma_f64 v[24:25], v[24:25], s[10:11], -v[152:153]
	s_delay_alu instid0(VALU_DEP_4) | instskip(NEXT) | instid1(VALU_DEP_3)
	v_add_f64_e32 v[40:41], v[158:159], v[40:41]
	v_add_f64_e32 v[240:241], v[154:155], v[214:215]
	v_fma_f64 v[154:155], v[46:47], s[40:41], v[26:27]
	s_delay_alu instid0(VALU_DEP_4) | instskip(SKIP_2) | instid1(VALU_DEP_4)
	v_add_f64_e32 v[170:171], v[24:25], v[10:11]
	v_fma_f64 v[10:11], v[46:47], s[20:21], v[26:27]
	v_add_f64_e64 v[46:47], v[176:177], -v[172:173]
	v_add_f64_e32 v[184:185], v[154:155], v[44:45]
	v_add_f64_e32 v[44:45], v[176:177], v[172:173]
	s_delay_alu instid0(VALU_DEP_4) | instskip(NEXT) | instid1(VALU_DEP_4)
	v_add_f64_e32 v[168:169], v[10:11], v[8:9]
	v_mul_f64_e32 v[8:9], s[24:25], v[46:47]
	s_delay_alu instid0(VALU_DEP_1) | instskip(SKIP_1) | instid1(VALU_DEP_2)
	v_fma_f64 v[10:11], v[182:183], s[14:15], v[8:9]
	v_fma_f64 v[8:9], v[182:183], s[14:15], -v[8:9]
	v_add_f64_e32 v[156:157], v[10:11], v[22:23]
	v_mul_f64_e32 v[10:11], s[14:15], v[44:45]
	s_delay_alu instid0(VALU_DEP_3) | instskip(NEXT) | instid1(VALU_DEP_2)
	v_add_f64_e32 v[152:153], v[8:9], v[20:21]
	v_fma_f64 v[22:23], v[174:175], s[42:43], v[10:11]
	v_fma_f64 v[8:9], v[174:175], s[24:25], v[10:11]
	s_delay_alu instid0(VALU_DEP_2) | instskip(SKIP_1) | instid1(VALU_DEP_3)
	v_add_f64_e32 v[158:159], v[22:23], v[30:31]
	v_mul_f64_e32 v[30:31], s[2:3], v[44:45]
	v_add_f64_e32 v[154:155], v[8:9], v[28:29]
	v_mul_f64_e32 v[8:9], s[30:31], v[46:47]
	v_mul_f64_e32 v[28:29], s[38:39], v[46:47]
	;; [unrolled: 1-line block ×3, first 2 shown]
	v_fma_f64 v[26:27], v[174:175], s[16:17], v[30:31]
	v_fma_f64 v[30:31], v[174:175], s[38:39], v[30:31]
	;; [unrolled: 1-line block ×4, first 2 shown]
	v_fma_f64 v[28:29], v[182:183], s[2:3], -v[28:29]
	v_fma_f64 v[8:9], v[182:183], s[26:27], -v[8:9]
	v_add_f64_e32 v[26:27], v[26:27], v[32:33]
	v_mul_f64_e32 v[32:33], s[20:21], v[46:47]
	v_add_f64_e32 v[164:165], v[10:11], v[216:217]
	v_mul_f64_e32 v[10:11], s[26:27], v[44:45]
	v_add_f64_e32 v[28:29], v[28:29], v[34:35]
	v_add_f64_e32 v[160:161], v[8:9], v[218:219]
	;; [unrolled: 1-line block ×4, first 2 shown]
	v_fma_f64 v[34:35], v[182:183], s[10:11], v[32:33]
	v_fma_f64 v[32:33], v[182:183], s[10:11], -v[32:33]
	v_fma_f64 v[20:21], v[174:175], s[28:29], v[10:11]
	v_fma_f64 v[8:9], v[174:175], s[30:31], v[10:11]
	;; [unrolled: 1-line block ×4, first 2 shown]
	v_add_f64_e32 v[176:177], v[34:35], v[36:37]
	v_mul_f64_e32 v[34:35], s[10:11], v[44:45]
	v_add_f64_e32 v[166:167], v[20:21], v[186:187]
	v_mul_f64_e32 v[20:21], s[22:23], v[46:47]
	v_add_f64_e32 v[10:11], v[10:11], v[212:213]
	v_add_f64_e32 v[212:213], v[32:33], v[42:43]
	;; [unrolled: 1-line block ×4, first 2 shown]
	v_fma_f64 v[32:33], v[174:175], s[20:21], v[34:35]
	v_fma_f64 v[36:37], v[174:175], s[40:41], v[34:35]
	;; [unrolled: 1-line block ×3, first 2 shown]
	v_fma_f64 v[20:21], v[182:183], s[12:13], -v[20:21]
	s_delay_alu instid0(VALU_DEP_4) | instskip(SKIP_4) | instid1(VALU_DEP_4)
	v_add_f64_e32 v[214:215], v[32:33], v[38:39]
	v_mul_f64_e32 v[32:33], s[34:35], v[46:47]
	v_add_f64_e32 v[178:179], v[36:37], v[40:41]
	v_add_f64_e32 v[8:9], v[8:9], v[222:223]
	v_add_f64_e32 v[20:21], v[20:21], v[232:233]
	v_fma_f64 v[34:35], v[182:183], s[8:9], v[32:33]
	v_fma_f64 v[32:33], v[182:183], s[8:9], -v[32:33]
	s_delay_alu instid0(VALU_DEP_2) | instskip(SKIP_1) | instid1(VALU_DEP_3)
	v_add_f64_e32 v[216:217], v[34:35], v[240:241]
	v_mul_f64_e32 v[34:35], s[8:9], v[44:45]
	v_add_f64_e32 v[170:171], v[32:33], v[170:171]
	s_delay_alu instid0(VALU_DEP_2) | instskip(SKIP_1) | instid1(VALU_DEP_2)
	v_fma_f64 v[36:37], v[174:175], s[18:19], v[34:35]
	v_fma_f64 v[32:33], v[174:175], s[34:35], v[34:35]
	v_add_f64_e32 v[218:219], v[36:37], v[184:185]
	s_delay_alu instid0(VALU_DEP_2)
	v_add_f64_e32 v[172:173], v[32:33], v[168:169]
	ds_store_b128 v243, v[148:151]
	ds_store_b128 v243, v[156:159] offset:64
	ds_store_b128 v243, v[164:167] offset:128
	;; [unrolled: 1-line block ×12, first 2 shown]
	s_and_saveexec_b32 s33, vcc_lo
	s_cbranch_execz .LBB0_9
; %bb.8:
	v_mul_f64_e32 v[8:9], v[142:143], v[190:191]
	scratch_load_b128 v[20:23], off, off offset:24 th:TH_LOAD_LU ; 16-byte Folded Reload
	v_fma_f64 v[148:149], v[140:141], v[188:189], v[8:9]
	v_mul_f64_e32 v[8:9], v[142:143], v[188:189]
	s_delay_alu instid0(VALU_DEP_1) | instskip(SKIP_1) | instid1(VALU_DEP_1)
	v_fma_f64 v[154:155], v[140:141], v[190:191], -v[8:9]
	v_mul_f64_e32 v[8:9], v[138:139], v[198:199]
	v_fma_f64 v[140:141], v[136:137], v[196:197], v[8:9]
	v_mul_f64_e32 v[8:9], v[138:139], v[196:197]
	s_delay_alu instid0(VALU_DEP_2) | instskip(NEXT) | instid1(VALU_DEP_2)
	v_add_f64_e64 v[190:191], v[148:149], -v[140:141]
	v_fma_f64 v[152:153], v[136:137], v[198:199], -v[8:9]
	v_mul_f64_e32 v[8:9], v[130:131], v[82:83]
	v_add_f64_e32 v[150:151], v[148:149], v[140:141]
	s_delay_alu instid0(VALU_DEP_3) | instskip(NEXT) | instid1(VALU_DEP_3)
	v_add_f64_e32 v[142:143], v[154:155], v[152:153]
	v_fma_f64 v[156:157], v[128:129], v[80:81], v[8:9]
	v_mul_f64_e32 v[8:9], v[130:131], v[80:81]
	v_add_f64_e64 v[196:197], v[154:155], -v[152:153]
	s_delay_alu instid0(VALU_DEP_2) | instskip(SKIP_1) | instid1(VALU_DEP_3)
	v_fma_f64 v[158:159], v[128:129], v[82:83], -v[8:9]
	v_mul_f64_e32 v[8:9], v[134:135], v[94:95]
	v_mul_f64_e32 v[44:45], s[24:25], v[196:197]
	s_delay_alu instid0(VALU_DEP_2) | instskip(SKIP_1) | instid1(VALU_DEP_2)
	v_fma_f64 v[128:129], v[132:133], v[92:93], v[8:9]
	v_mul_f64_e32 v[8:9], v[134:135], v[92:93]
	v_add_f64_e64 v[198:199], v[156:157], -v[128:129]
	s_delay_alu instid0(VALU_DEP_2) | instskip(SKIP_2) | instid1(VALU_DEP_3)
	v_fma_f64 v[136:137], v[132:133], v[94:95], -v[8:9]
	v_mul_f64_e32 v[8:9], v[122:123], v[78:79]
	v_add_f64_e32 v[138:139], v[156:157], v[128:129]
	v_add_f64_e32 v[134:135], v[158:159], v[136:137]
	s_delay_alu instid0(VALU_DEP_3) | instskip(SKIP_2) | instid1(VALU_DEP_2)
	v_fma_f64 v[160:161], v[120:121], v[76:77], v[8:9]
	v_mul_f64_e32 v[8:9], v[122:123], v[76:77]
	v_add_f64_e64 v[188:189], v[158:159], -v[136:137]
	v_fma_f64 v[162:163], v[120:121], v[78:79], -v[8:9]
	v_mul_f64_e32 v[8:9], v[126:127], v[90:91]
	s_delay_alu instid0(VALU_DEP_1) | instskip(SKIP_1) | instid1(VALU_DEP_2)
	v_fma_f64 v[120:121], v[124:125], v[88:89], v[8:9]
	v_mul_f64_e32 v[8:9], v[126:127], v[88:89]
	v_add_f64_e64 v[186:187], v[160:161], -v[120:121]
	s_delay_alu instid0(VALU_DEP_2) | instskip(SKIP_2) | instid1(VALU_DEP_3)
	v_fma_f64 v[122:123], v[124:125], v[90:91], -v[8:9]
	v_mul_f64_e32 v[8:9], v[114:115], v[74:75]
	v_add_f64_e32 v[132:133], v[160:161], v[120:121]
	v_add_f64_e32 v[130:131], v[162:163], v[122:123]
	s_delay_alu instid0(VALU_DEP_3) | instskip(SKIP_2) | instid1(VALU_DEP_2)
	v_fma_f64 v[164:165], v[112:113], v[72:73], v[8:9]
	v_mul_f64_e32 v[8:9], v[114:115], v[72:73]
	v_add_f64_e64 v[184:185], v[162:163], -v[122:123]
	v_fma_f64 v[166:167], v[112:113], v[74:75], -v[8:9]
	v_mul_f64_e32 v[8:9], v[118:119], v[86:87]
	s_delay_alu instid0(VALU_DEP_1) | instskip(SKIP_1) | instid1(VALU_DEP_2)
	v_fma_f64 v[112:113], v[116:117], v[84:85], v[8:9]
	v_mul_f64_e32 v[8:9], v[118:119], v[84:85]
	v_add_f64_e64 v[182:183], v[164:165], -v[112:113]
	s_delay_alu instid0(VALU_DEP_2) | instskip(SKIP_2) | instid1(VALU_DEP_3)
	v_fma_f64 v[114:115], v[116:117], v[86:87], -v[8:9]
	v_mul_f64_e32 v[8:9], v[106:107], v[70:71]
	v_add_f64_e32 v[126:127], v[164:165], v[112:113]
	v_add_f64_e32 v[124:125], v[166:167], v[114:115]
	s_delay_alu instid0(VALU_DEP_3) | instskip(SKIP_2) | instid1(VALU_DEP_2)
	v_fma_f64 v[168:169], v[104:105], v[68:69], v[8:9]
	v_mul_f64_e32 v[8:9], v[106:107], v[68:69]
	v_add_f64_e64 v[180:181], v[166:167], -v[114:115]
	v_fma_f64 v[170:171], v[104:105], v[70:71], -v[8:9]
	s_wait_loadcnt 0x0
	v_mul_f64_e32 v[8:9], v[110:111], v[22:23]
	s_delay_alu instid0(VALU_DEP_1) | instskip(SKIP_1) | instid1(VALU_DEP_2)
	v_fma_f64 v[104:105], v[108:109], v[20:21], v[8:9]
	v_mul_f64_e32 v[8:9], v[110:111], v[20:21]
	v_add_f64_e64 v[176:177], v[168:169], -v[104:105]
	s_delay_alu instid0(VALU_DEP_2)
	v_fma_f64 v[108:109], v[108:109], v[22:23], -v[8:9]
	scratch_load_b128 v[20:23], off, off offset:8 th:TH_LOAD_LU ; 16-byte Folded Reload
	v_mul_f64_e32 v[8:9], v[98:99], v[66:67]
	v_add_f64_e32 v[118:119], v[168:169], v[104:105]
	v_add_f64_e32 v[110:111], v[170:171], v[108:109]
	v_add_f64_e64 v[178:179], v[170:171], -v[108:109]
	s_delay_alu instid0(VALU_DEP_4) | instskip(SKIP_1) | instid1(VALU_DEP_3)
	v_fma_f64 v[172:173], v[96:97], v[64:65], v[8:9]
	v_mul_f64_e32 v[8:9], v[98:99], v[64:65]
	v_mul_f64_e32 v[26:27], s[30:31], v[178:179]
	s_delay_alu instid0(VALU_DEP_2) | instskip(NEXT) | instid1(VALU_DEP_2)
	v_fma_f64 v[174:175], v[96:97], v[66:67], -v[8:9]
	v_fma_f64 v[28:29], v[118:119], s[26:27], -v[26:27]
	s_wait_loadcnt 0x0
	v_mul_f64_e32 v[8:9], v[102:103], v[22:23]
	s_delay_alu instid0(VALU_DEP_1) | instskip(SKIP_2) | instid1(VALU_DEP_3)
	v_fma_f64 v[106:107], v[100:101], v[20:21], v[8:9]
	v_mul_f64_e32 v[8:9], v[102:103], v[20:21]
	v_mul_f64_e32 v[20:21], s[30:31], v[176:177]
	v_add_f64_e64 v[216:217], v[172:173], -v[106:107]
	s_delay_alu instid0(VALU_DEP_3) | instskip(NEXT) | instid1(VALU_DEP_3)
	v_fma_f64 v[116:117], v[100:101], v[22:23], -v[8:9]
	v_fma_f64 v[22:23], v[110:111], s[26:27], v[20:21]
	v_add_f64_e32 v[214:215], v[172:173], v[106:107]
	v_fma_f64 v[20:21], v[110:111], s[26:27], -v[20:21]
	v_mul_f64_e32 v[8:9], s[24:25], v[216:217]
	v_add_f64_e32 v[212:213], v[174:175], v[116:117]
	v_add_f64_e64 v[218:219], v[174:175], -v[116:117]
	s_delay_alu instid0(VALU_DEP_2) | instskip(SKIP_1) | instid1(VALU_DEP_2)
	v_fma_f64 v[10:11], v[212:213], s[14:15], v[8:9]
	v_fma_f64 v[8:9], v[212:213], s[14:15], -v[8:9]
	v_add_f64_e32 v[10:11], v[230:231], v[10:11]
	s_delay_alu instid0(VALU_DEP_2) | instskip(NEXT) | instid1(VALU_DEP_2)
	v_add_f64_e32 v[8:9], v[230:231], v[8:9]
	v_add_f64_e32 v[10:11], v[22:23], v[10:11]
	v_mul_f64_e32 v[22:23], s[24:25], v[218:219]
	s_delay_alu instid0(VALU_DEP_3) | instskip(NEXT) | instid1(VALU_DEP_2)
	v_add_f64_e32 v[8:9], v[20:21], v[8:9]
	v_fma_f64 v[24:25], v[214:215], s[14:15], -v[22:23]
	v_fma_f64 v[20:21], v[214:215], s[14:15], v[22:23]
	v_fma_f64 v[22:23], v[118:119], s[26:27], v[26:27]
	v_mul_f64_e32 v[26:27], s[34:35], v[178:179]
	s_delay_alu instid0(VALU_DEP_4) | instskip(NEXT) | instid1(VALU_DEP_4)
	v_add_f64_e32 v[24:25], v[228:229], v[24:25]
	v_add_f64_e32 v[20:21], v[228:229], v[20:21]
	s_delay_alu instid0(VALU_DEP_2) | instskip(SKIP_1) | instid1(VALU_DEP_3)
	v_add_f64_e32 v[24:25], v[28:29], v[24:25]
	v_mul_f64_e32 v[28:29], s[22:23], v[182:183]
	v_add_f64_e32 v[20:21], v[22:23], v[20:21]
	s_delay_alu instid0(VALU_DEP_2) | instskip(SKIP_2) | instid1(VALU_DEP_3)
	v_fma_f64 v[30:31], v[124:125], s[12:13], v[28:29]
	v_fma_f64 v[22:23], v[124:125], s[12:13], -v[28:29]
	v_fma_f64 v[28:29], v[118:119], s[8:9], -v[26:27]
	v_add_f64_e32 v[10:11], v[30:31], v[10:11]
	v_mul_f64_e32 v[30:31], s[22:23], v[180:181]
	s_delay_alu instid0(VALU_DEP_4) | instskip(NEXT) | instid1(VALU_DEP_2)
	v_add_f64_e32 v[8:9], v[22:23], v[8:9]
	v_fma_f64 v[32:33], v[126:127], s[12:13], -v[30:31]
	v_fma_f64 v[22:23], v[126:127], s[12:13], v[30:31]
	s_delay_alu instid0(VALU_DEP_2) | instskip(SKIP_1) | instid1(VALU_DEP_3)
	v_add_f64_e32 v[24:25], v[32:33], v[24:25]
	v_mul_f64_e32 v[32:33], s[38:39], v[186:187]
	v_add_f64_e32 v[20:21], v[22:23], v[20:21]
	s_delay_alu instid0(VALU_DEP_2) | instskip(SKIP_1) | instid1(VALU_DEP_2)
	v_fma_f64 v[34:35], v[130:131], s[2:3], v[32:33]
	v_fma_f64 v[22:23], v[130:131], s[2:3], -v[32:33]
	v_add_f64_e32 v[10:11], v[34:35], v[10:11]
	v_mul_f64_e32 v[34:35], s[38:39], v[184:185]
	s_delay_alu instid0(VALU_DEP_3) | instskip(NEXT) | instid1(VALU_DEP_2)
	v_add_f64_e32 v[8:9], v[22:23], v[8:9]
	v_fma_f64 v[36:37], v[132:133], s[2:3], -v[34:35]
	v_fma_f64 v[22:23], v[132:133], s[2:3], v[34:35]
	s_delay_alu instid0(VALU_DEP_2) | instskip(SKIP_1) | instid1(VALU_DEP_3)
	v_add_f64_e32 v[24:25], v[36:37], v[24:25]
	v_mul_f64_e32 v[36:37], s[20:21], v[198:199]
	v_add_f64_e32 v[20:21], v[22:23], v[20:21]
	s_delay_alu instid0(VALU_DEP_2) | instskip(SKIP_1) | instid1(VALU_DEP_2)
	v_fma_f64 v[38:39], v[134:135], s[10:11], v[36:37]
	v_fma_f64 v[22:23], v[134:135], s[10:11], -v[36:37]
	v_add_f64_e32 v[10:11], v[38:39], v[10:11]
	v_mul_f64_e32 v[38:39], s[20:21], v[188:189]
	s_delay_alu instid0(VALU_DEP_3) | instskip(NEXT) | instid1(VALU_DEP_2)
	v_add_f64_e32 v[8:9], v[22:23], v[8:9]
	v_fma_f64 v[40:41], v[138:139], s[10:11], -v[38:39]
	v_fma_f64 v[22:23], v[138:139], s[10:11], v[38:39]
	s_delay_alu instid0(VALU_DEP_2) | instskip(SKIP_1) | instid1(VALU_DEP_3)
	v_add_f64_e32 v[24:25], v[40:41], v[24:25]
	v_mul_f64_e32 v[40:41], s[34:35], v[190:191]
	v_add_f64_e32 v[20:21], v[22:23], v[20:21]
	s_delay_alu instid0(VALU_DEP_2) | instskip(SKIP_1) | instid1(VALU_DEP_2)
	v_fma_f64 v[42:43], v[142:143], s[8:9], v[40:41]
	v_fma_f64 v[22:23], v[142:143], s[8:9], -v[40:41]
	v_add_f64_e32 v[66:67], v[42:43], v[10:11]
	v_mul_f64_e32 v[10:11], s[34:35], v[196:197]
	s_delay_alu instid0(VALU_DEP_3) | instskip(SKIP_1) | instid1(VALU_DEP_3)
	v_add_f64_e32 v[70:71], v[22:23], v[8:9]
	v_mul_f64_e32 v[8:9], s[22:23], v[216:217]
	v_fma_f64 v[42:43], v[150:151], s[8:9], -v[10:11]
	v_fma_f64 v[10:11], v[150:151], s[8:9], v[10:11]
	s_delay_alu instid0(VALU_DEP_2) | instskip(NEXT) | instid1(VALU_DEP_2)
	v_add_f64_e32 v[64:65], v[42:43], v[24:25]
	v_add_f64_e32 v[68:69], v[10:11], v[20:21]
	v_fma_f64 v[10:11], v[212:213], s[12:13], v[8:9]
	v_mul_f64_e32 v[20:21], s[34:35], v[176:177]
	v_fma_f64 v[8:9], v[212:213], s[12:13], -v[8:9]
	s_delay_alu instid0(VALU_DEP_3) | instskip(NEXT) | instid1(VALU_DEP_3)
	v_add_f64_e32 v[10:11], v[230:231], v[10:11]
	v_fma_f64 v[22:23], v[110:111], s[8:9], v[20:21]
	v_fma_f64 v[20:21], v[110:111], s[8:9], -v[20:21]
	s_delay_alu instid0(VALU_DEP_4) | instskip(NEXT) | instid1(VALU_DEP_3)
	v_add_f64_e32 v[8:9], v[230:231], v[8:9]
	v_add_f64_e32 v[10:11], v[22:23], v[10:11]
	v_mul_f64_e32 v[22:23], s[22:23], v[218:219]
	s_delay_alu instid0(VALU_DEP_3) | instskip(NEXT) | instid1(VALU_DEP_2)
	v_add_f64_e32 v[8:9], v[20:21], v[8:9]
	v_fma_f64 v[24:25], v[214:215], s[12:13], -v[22:23]
	v_fma_f64 v[20:21], v[214:215], s[12:13], v[22:23]
	v_fma_f64 v[22:23], v[118:119], s[8:9], v[26:27]
	v_mul_f64_e32 v[26:27], s[36:37], v[178:179]
	s_delay_alu instid0(VALU_DEP_4) | instskip(NEXT) | instid1(VALU_DEP_4)
	v_add_f64_e32 v[24:25], v[228:229], v[24:25]
	v_add_f64_e32 v[20:21], v[228:229], v[20:21]
	s_delay_alu instid0(VALU_DEP_2) | instskip(SKIP_1) | instid1(VALU_DEP_3)
	v_add_f64_e32 v[24:25], v[28:29], v[24:25]
	v_mul_f64_e32 v[28:29], s[16:17], v[182:183]
	v_add_f64_e32 v[20:21], v[22:23], v[20:21]
	s_delay_alu instid0(VALU_DEP_2) | instskip(SKIP_2) | instid1(VALU_DEP_3)
	v_fma_f64 v[30:31], v[124:125], s[2:3], v[28:29]
	v_fma_f64 v[22:23], v[124:125], s[2:3], -v[28:29]
	v_fma_f64 v[28:29], v[118:119], s[12:13], -v[26:27]
	v_add_f64_e32 v[10:11], v[30:31], v[10:11]
	v_mul_f64_e32 v[30:31], s[16:17], v[180:181]
	s_delay_alu instid0(VALU_DEP_4) | instskip(NEXT) | instid1(VALU_DEP_2)
	v_add_f64_e32 v[8:9], v[22:23], v[8:9]
	v_fma_f64 v[32:33], v[126:127], s[2:3], -v[30:31]
	v_fma_f64 v[22:23], v[126:127], s[2:3], v[30:31]
	s_delay_alu instid0(VALU_DEP_2) | instskip(SKIP_1) | instid1(VALU_DEP_3)
	v_add_f64_e32 v[24:25], v[32:33], v[24:25]
	v_mul_f64_e32 v[32:33], s[42:43], v[186:187]
	v_add_f64_e32 v[20:21], v[22:23], v[20:21]
	s_delay_alu instid0(VALU_DEP_2) | instskip(SKIP_1) | instid1(VALU_DEP_2)
	v_fma_f64 v[34:35], v[130:131], s[14:15], v[32:33]
	v_fma_f64 v[22:23], v[130:131], s[14:15], -v[32:33]
	v_add_f64_e32 v[10:11], v[34:35], v[10:11]
	v_mul_f64_e32 v[34:35], s[42:43], v[184:185]
	s_delay_alu instid0(VALU_DEP_3) | instskip(NEXT) | instid1(VALU_DEP_2)
	v_add_f64_e32 v[8:9], v[22:23], v[8:9]
	v_fma_f64 v[36:37], v[132:133], s[14:15], -v[34:35]
	v_fma_f64 v[22:23], v[132:133], s[14:15], v[34:35]
	s_delay_alu instid0(VALU_DEP_2) | instskip(SKIP_1) | instid1(VALU_DEP_3)
	v_add_f64_e32 v[24:25], v[36:37], v[24:25]
	v_mul_f64_e32 v[36:37], s[30:31], v[198:199]
	v_add_f64_e32 v[20:21], v[22:23], v[20:21]
	s_delay_alu instid0(VALU_DEP_2) | instskip(SKIP_1) | instid1(VALU_DEP_2)
	v_fma_f64 v[38:39], v[134:135], s[26:27], v[36:37]
	v_fma_f64 v[22:23], v[134:135], s[26:27], -v[36:37]
	v_add_f64_e32 v[10:11], v[38:39], v[10:11]
	v_mul_f64_e32 v[38:39], s[30:31], v[188:189]
	s_delay_alu instid0(VALU_DEP_3) | instskip(NEXT) | instid1(VALU_DEP_2)
	v_add_f64_e32 v[8:9], v[22:23], v[8:9]
	v_fma_f64 v[40:41], v[138:139], s[26:27], -v[38:39]
	v_fma_f64 v[22:23], v[138:139], s[26:27], v[38:39]
	s_delay_alu instid0(VALU_DEP_2) | instskip(SKIP_1) | instid1(VALU_DEP_3)
	v_add_f64_e32 v[24:25], v[40:41], v[24:25]
	v_mul_f64_e32 v[40:41], s[20:21], v[190:191]
	v_add_f64_e32 v[20:21], v[22:23], v[20:21]
	s_delay_alu instid0(VALU_DEP_2) | instskip(SKIP_1) | instid1(VALU_DEP_2)
	v_fma_f64 v[42:43], v[142:143], s[10:11], v[40:41]
	v_fma_f64 v[22:23], v[142:143], s[10:11], -v[40:41]
	v_add_f64_e32 v[74:75], v[42:43], v[10:11]
	v_mul_f64_e32 v[10:11], s[20:21], v[196:197]
	s_delay_alu instid0(VALU_DEP_3) | instskip(SKIP_1) | instid1(VALU_DEP_3)
	v_add_f64_e32 v[78:79], v[22:23], v[8:9]
	v_mul_f64_e32 v[8:9], s[20:21], v[216:217]
	v_fma_f64 v[42:43], v[150:151], s[10:11], -v[10:11]
	v_fma_f64 v[10:11], v[150:151], s[10:11], v[10:11]
	s_delay_alu instid0(VALU_DEP_2) | instskip(NEXT) | instid1(VALU_DEP_2)
	v_add_f64_e32 v[72:73], v[42:43], v[24:25]
	v_add_f64_e32 v[76:77], v[10:11], v[20:21]
	v_fma_f64 v[10:11], v[212:213], s[10:11], v[8:9]
	v_mul_f64_e32 v[20:21], s[36:37], v[176:177]
	v_fma_f64 v[8:9], v[212:213], s[10:11], -v[8:9]
	s_delay_alu instid0(VALU_DEP_3) | instskip(NEXT) | instid1(VALU_DEP_3)
	v_add_f64_e32 v[10:11], v[230:231], v[10:11]
	v_fma_f64 v[22:23], v[110:111], s[12:13], v[20:21]
	v_fma_f64 v[20:21], v[110:111], s[12:13], -v[20:21]
	s_delay_alu instid0(VALU_DEP_4) | instskip(NEXT) | instid1(VALU_DEP_3)
	v_add_f64_e32 v[8:9], v[230:231], v[8:9]
	v_add_f64_e32 v[10:11], v[22:23], v[10:11]
	v_mul_f64_e32 v[22:23], s[20:21], v[218:219]
	s_delay_alu instid0(VALU_DEP_3) | instskip(NEXT) | instid1(VALU_DEP_2)
	v_add_f64_e32 v[8:9], v[20:21], v[8:9]
	v_fma_f64 v[24:25], v[214:215], s[10:11], -v[22:23]
	v_fma_f64 v[20:21], v[214:215], s[10:11], v[22:23]
	v_fma_f64 v[22:23], v[118:119], s[12:13], v[26:27]
	v_mul_f64_e32 v[26:27], s[24:25], v[178:179]
	s_delay_alu instid0(VALU_DEP_4) | instskip(NEXT) | instid1(VALU_DEP_4)
	v_add_f64_e32 v[24:25], v[228:229], v[24:25]
	v_add_f64_e32 v[20:21], v[228:229], v[20:21]
	s_delay_alu instid0(VALU_DEP_2) | instskip(SKIP_1) | instid1(VALU_DEP_3)
	v_add_f64_e32 v[24:25], v[28:29], v[24:25]
	v_mul_f64_e32 v[28:29], s[30:31], v[182:183]
	v_add_f64_e32 v[20:21], v[22:23], v[20:21]
	s_delay_alu instid0(VALU_DEP_2) | instskip(SKIP_2) | instid1(VALU_DEP_3)
	v_fma_f64 v[30:31], v[124:125], s[26:27], v[28:29]
	v_fma_f64 v[22:23], v[124:125], s[26:27], -v[28:29]
	v_fma_f64 v[28:29], v[118:119], s[14:15], -v[26:27]
	v_add_f64_e32 v[10:11], v[30:31], v[10:11]
	v_mul_f64_e32 v[30:31], s[30:31], v[180:181]
	s_delay_alu instid0(VALU_DEP_4) | instskip(NEXT) | instid1(VALU_DEP_2)
	v_add_f64_e32 v[8:9], v[22:23], v[8:9]
	v_fma_f64 v[32:33], v[126:127], s[26:27], -v[30:31]
	v_fma_f64 v[22:23], v[126:127], s[26:27], v[30:31]
	s_delay_alu instid0(VALU_DEP_2) | instskip(SKIP_1) | instid1(VALU_DEP_3)
	v_add_f64_e32 v[24:25], v[32:33], v[24:25]
	v_mul_f64_e32 v[32:33], s[18:19], v[186:187]
	v_add_f64_e32 v[20:21], v[22:23], v[20:21]
	s_delay_alu instid0(VALU_DEP_2) | instskip(SKIP_1) | instid1(VALU_DEP_2)
	v_fma_f64 v[34:35], v[130:131], s[8:9], v[32:33]
	v_fma_f64 v[22:23], v[130:131], s[8:9], -v[32:33]
	v_add_f64_e32 v[10:11], v[34:35], v[10:11]
	v_mul_f64_e32 v[34:35], s[18:19], v[184:185]
	s_delay_alu instid0(VALU_DEP_3) | instskip(NEXT) | instid1(VALU_DEP_2)
	v_add_f64_e32 v[8:9], v[22:23], v[8:9]
	v_fma_f64 v[36:37], v[132:133], s[8:9], -v[34:35]
	v_fma_f64 v[22:23], v[132:133], s[8:9], v[34:35]
	s_delay_alu instid0(VALU_DEP_2) | instskip(SKIP_1) | instid1(VALU_DEP_3)
	v_add_f64_e32 v[24:25], v[36:37], v[24:25]
	v_mul_f64_e32 v[36:37], s[42:43], v[198:199]
	v_add_f64_e32 v[20:21], v[22:23], v[20:21]
	s_delay_alu instid0(VALU_DEP_2) | instskip(SKIP_1) | instid1(VALU_DEP_2)
	v_fma_f64 v[38:39], v[134:135], s[14:15], v[36:37]
	v_fma_f64 v[22:23], v[134:135], s[14:15], -v[36:37]
	v_add_f64_e32 v[10:11], v[38:39], v[10:11]
	v_mul_f64_e32 v[38:39], s[42:43], v[188:189]
	s_delay_alu instid0(VALU_DEP_3) | instskip(NEXT) | instid1(VALU_DEP_2)
	v_add_f64_e32 v[8:9], v[22:23], v[8:9]
	v_fma_f64 v[40:41], v[138:139], s[14:15], -v[38:39]
	v_fma_f64 v[22:23], v[138:139], s[14:15], v[38:39]
	s_delay_alu instid0(VALU_DEP_2) | instskip(SKIP_1) | instid1(VALU_DEP_3)
	v_add_f64_e32 v[24:25], v[40:41], v[24:25]
	v_mul_f64_e32 v[40:41], s[38:39], v[190:191]
	v_add_f64_e32 v[20:21], v[22:23], v[20:21]
	s_delay_alu instid0(VALU_DEP_2) | instskip(SKIP_1) | instid1(VALU_DEP_2)
	v_fma_f64 v[42:43], v[142:143], s[2:3], v[40:41]
	v_fma_f64 v[22:23], v[142:143], s[2:3], -v[40:41]
	v_add_f64_e32 v[82:83], v[42:43], v[10:11]
	v_mul_f64_e32 v[10:11], s[38:39], v[196:197]
	s_delay_alu instid0(VALU_DEP_3) | instskip(SKIP_1) | instid1(VALU_DEP_3)
	v_add_f64_e32 v[86:87], v[22:23], v[8:9]
	v_mul_f64_e32 v[8:9], s[18:19], v[216:217]
	v_fma_f64 v[42:43], v[150:151], s[2:3], -v[10:11]
	v_fma_f64 v[10:11], v[150:151], s[2:3], v[10:11]
	s_delay_alu instid0(VALU_DEP_2) | instskip(NEXT) | instid1(VALU_DEP_2)
	v_add_f64_e32 v[80:81], v[42:43], v[24:25]
	v_add_f64_e32 v[84:85], v[10:11], v[20:21]
	v_fma_f64 v[10:11], v[212:213], s[8:9], v[8:9]
	v_mul_f64_e32 v[20:21], s[24:25], v[176:177]
	v_fma_f64 v[8:9], v[212:213], s[8:9], -v[8:9]
	s_delay_alu instid0(VALU_DEP_3) | instskip(NEXT) | instid1(VALU_DEP_3)
	v_add_f64_e32 v[10:11], v[230:231], v[10:11]
	v_fma_f64 v[22:23], v[110:111], s[14:15], v[20:21]
	v_fma_f64 v[20:21], v[110:111], s[14:15], -v[20:21]
	s_delay_alu instid0(VALU_DEP_4) | instskip(NEXT) | instid1(VALU_DEP_3)
	v_add_f64_e32 v[8:9], v[230:231], v[8:9]
	v_add_f64_e32 v[10:11], v[22:23], v[10:11]
	v_mul_f64_e32 v[22:23], s[18:19], v[218:219]
	s_delay_alu instid0(VALU_DEP_3) | instskip(NEXT) | instid1(VALU_DEP_2)
	v_add_f64_e32 v[8:9], v[20:21], v[8:9]
	v_fma_f64 v[24:25], v[214:215], s[8:9], -v[22:23]
	v_fma_f64 v[20:21], v[214:215], s[8:9], v[22:23]
	v_fma_f64 v[22:23], v[118:119], s[14:15], v[26:27]
	v_mul_f64_e32 v[26:27], s[20:21], v[178:179]
	s_delay_alu instid0(VALU_DEP_4) | instskip(NEXT) | instid1(VALU_DEP_4)
	v_add_f64_e32 v[24:25], v[228:229], v[24:25]
	v_add_f64_e32 v[20:21], v[228:229], v[20:21]
	s_delay_alu instid0(VALU_DEP_2) | instskip(SKIP_1) | instid1(VALU_DEP_3)
	v_add_f64_e32 v[24:25], v[28:29], v[24:25]
	v_mul_f64_e32 v[28:29], s[40:41], v[182:183]
	v_add_f64_e32 v[20:21], v[22:23], v[20:21]
	s_delay_alu instid0(VALU_DEP_2) | instskip(SKIP_2) | instid1(VALU_DEP_3)
	v_fma_f64 v[30:31], v[124:125], s[10:11], v[28:29]
	v_fma_f64 v[22:23], v[124:125], s[10:11], -v[28:29]
	v_fma_f64 v[28:29], v[118:119], s[10:11], -v[26:27]
	v_add_f64_e32 v[10:11], v[30:31], v[10:11]
	v_mul_f64_e32 v[30:31], s[40:41], v[180:181]
	s_delay_alu instid0(VALU_DEP_4) | instskip(NEXT) | instid1(VALU_DEP_2)
	v_add_f64_e32 v[8:9], v[22:23], v[8:9]
	v_fma_f64 v[32:33], v[126:127], s[10:11], -v[30:31]
	v_fma_f64 v[22:23], v[126:127], s[10:11], v[30:31]
	s_delay_alu instid0(VALU_DEP_2) | instskip(SKIP_1) | instid1(VALU_DEP_3)
	v_add_f64_e32 v[24:25], v[32:33], v[24:25]
	v_mul_f64_e32 v[32:33], s[30:31], v[186:187]
	v_add_f64_e32 v[20:21], v[22:23], v[20:21]
	s_delay_alu instid0(VALU_DEP_2) | instskip(SKIP_1) | instid1(VALU_DEP_2)
	v_fma_f64 v[34:35], v[130:131], s[26:27], v[32:33]
	v_fma_f64 v[22:23], v[130:131], s[26:27], -v[32:33]
	v_add_f64_e32 v[10:11], v[34:35], v[10:11]
	v_mul_f64_e32 v[34:35], s[30:31], v[184:185]
	s_delay_alu instid0(VALU_DEP_3) | instskip(NEXT) | instid1(VALU_DEP_2)
	v_add_f64_e32 v[8:9], v[22:23], v[8:9]
	v_fma_f64 v[36:37], v[132:133], s[26:27], -v[34:35]
	v_fma_f64 v[22:23], v[132:133], s[26:27], v[34:35]
	s_delay_alu instid0(VALU_DEP_2) | instskip(SKIP_1) | instid1(VALU_DEP_3)
	v_add_f64_e32 v[24:25], v[36:37], v[24:25]
	v_mul_f64_e32 v[36:37], s[16:17], v[198:199]
	v_add_f64_e32 v[20:21], v[22:23], v[20:21]
	s_delay_alu instid0(VALU_DEP_2) | instskip(SKIP_1) | instid1(VALU_DEP_2)
	v_fma_f64 v[38:39], v[134:135], s[2:3], v[36:37]
	v_fma_f64 v[22:23], v[134:135], s[2:3], -v[36:37]
	v_add_f64_e32 v[10:11], v[38:39], v[10:11]
	v_mul_f64_e32 v[38:39], s[16:17], v[188:189]
	s_delay_alu instid0(VALU_DEP_3) | instskip(NEXT) | instid1(VALU_DEP_2)
	v_add_f64_e32 v[8:9], v[22:23], v[8:9]
	v_fma_f64 v[40:41], v[138:139], s[2:3], -v[38:39]
	v_fma_f64 v[22:23], v[138:139], s[2:3], v[38:39]
	s_delay_alu instid0(VALU_DEP_2) | instskip(SKIP_1) | instid1(VALU_DEP_3)
	v_add_f64_e32 v[24:25], v[40:41], v[24:25]
	v_mul_f64_e32 v[40:41], s[22:23], v[190:191]
	v_add_f64_e32 v[20:21], v[22:23], v[20:21]
	s_delay_alu instid0(VALU_DEP_2) | instskip(SKIP_1) | instid1(VALU_DEP_2)
	v_fma_f64 v[42:43], v[142:143], s[12:13], v[40:41]
	v_fma_f64 v[22:23], v[142:143], s[12:13], -v[40:41]
	v_add_f64_e32 v[90:91], v[42:43], v[10:11]
	v_mul_f64_e32 v[10:11], s[22:23], v[196:197]
	s_delay_alu instid0(VALU_DEP_3) | instskip(SKIP_1) | instid1(VALU_DEP_3)
	v_add_f64_e32 v[94:95], v[22:23], v[8:9]
	v_mul_f64_e32 v[8:9], s[16:17], v[216:217]
	v_fma_f64 v[42:43], v[150:151], s[12:13], -v[10:11]
	v_fma_f64 v[10:11], v[150:151], s[12:13], v[10:11]
	s_delay_alu instid0(VALU_DEP_2) | instskip(NEXT) | instid1(VALU_DEP_2)
	v_add_f64_e32 v[88:89], v[42:43], v[24:25]
	v_add_f64_e32 v[92:93], v[10:11], v[20:21]
	v_fma_f64 v[10:11], v[212:213], s[2:3], v[8:9]
	v_mul_f64_e32 v[20:21], s[20:21], v[176:177]
	v_fma_f64 v[8:9], v[212:213], s[2:3], -v[8:9]
	s_delay_alu instid0(VALU_DEP_3) | instskip(NEXT) | instid1(VALU_DEP_3)
	v_add_f64_e32 v[10:11], v[230:231], v[10:11]
	v_fma_f64 v[22:23], v[110:111], s[10:11], v[20:21]
	v_fma_f64 v[20:21], v[110:111], s[10:11], -v[20:21]
	s_delay_alu instid0(VALU_DEP_4) | instskip(NEXT) | instid1(VALU_DEP_3)
	v_add_f64_e32 v[8:9], v[230:231], v[8:9]
	v_add_f64_e32 v[10:11], v[22:23], v[10:11]
	v_mul_f64_e32 v[22:23], s[16:17], v[218:219]
	s_delay_alu instid0(VALU_DEP_3) | instskip(NEXT) | instid1(VALU_DEP_2)
	v_add_f64_e32 v[8:9], v[20:21], v[8:9]
	v_fma_f64 v[24:25], v[214:215], s[2:3], -v[22:23]
	v_fma_f64 v[20:21], v[214:215], s[2:3], v[22:23]
	v_fma_f64 v[22:23], v[118:119], s[10:11], v[26:27]
	s_delay_alu instid0(VALU_DEP_3) | instskip(NEXT) | instid1(VALU_DEP_3)
	v_add_f64_e32 v[24:25], v[228:229], v[24:25]
	v_add_f64_e32 v[20:21], v[228:229], v[20:21]
	s_delay_alu instid0(VALU_DEP_2) | instskip(SKIP_1) | instid1(VALU_DEP_3)
	v_add_f64_e32 v[24:25], v[28:29], v[24:25]
	v_mul_f64_e32 v[28:29], s[24:25], v[182:183]
	v_add_f64_e32 v[20:21], v[22:23], v[20:21]
	s_delay_alu instid0(VALU_DEP_2) | instskip(SKIP_1) | instid1(VALU_DEP_2)
	v_fma_f64 v[30:31], v[124:125], s[14:15], v[28:29]
	v_fma_f64 v[22:23], v[124:125], s[14:15], -v[28:29]
	v_add_f64_e32 v[10:11], v[30:31], v[10:11]
	v_mul_f64_e32 v[30:31], s[24:25], v[180:181]
	s_delay_alu instid0(VALU_DEP_3) | instskip(NEXT) | instid1(VALU_DEP_2)
	v_add_f64_e32 v[8:9], v[22:23], v[8:9]
	v_fma_f64 v[32:33], v[126:127], s[14:15], -v[30:31]
	v_fma_f64 v[22:23], v[126:127], s[14:15], v[30:31]
	s_delay_alu instid0(VALU_DEP_2) | instskip(SKIP_1) | instid1(VALU_DEP_3)
	v_add_f64_e32 v[24:25], v[32:33], v[24:25]
	v_mul_f64_e32 v[32:33], s[36:37], v[186:187]
	v_add_f64_e32 v[20:21], v[22:23], v[20:21]
	s_delay_alu instid0(VALU_DEP_2) | instskip(SKIP_1) | instid1(VALU_DEP_2)
	v_fma_f64 v[34:35], v[130:131], s[12:13], v[32:33]
	v_fma_f64 v[22:23], v[130:131], s[12:13], -v[32:33]
	v_add_f64_e32 v[10:11], v[34:35], v[10:11]
	v_mul_f64_e32 v[34:35], s[36:37], v[184:185]
	s_delay_alu instid0(VALU_DEP_3) | instskip(NEXT) | instid1(VALU_DEP_2)
	v_add_f64_e32 v[8:9], v[22:23], v[8:9]
	v_fma_f64 v[36:37], v[132:133], s[12:13], -v[34:35]
	v_fma_f64 v[22:23], v[132:133], s[12:13], v[34:35]
	;; [unrolled: 13-line block ×3, first 2 shown]
	s_delay_alu instid0(VALU_DEP_2) | instskip(SKIP_1) | instid1(VALU_DEP_3)
	v_add_f64_e32 v[24:25], v[40:41], v[24:25]
	v_mul_f64_e32 v[40:41], s[30:31], v[190:191]
	v_add_f64_e32 v[20:21], v[22:23], v[20:21]
	s_delay_alu instid0(VALU_DEP_2) | instskip(SKIP_1) | instid1(VALU_DEP_2)
	v_fma_f64 v[42:43], v[142:143], s[26:27], v[40:41]
	v_fma_f64 v[22:23], v[142:143], s[26:27], -v[40:41]
	v_add_f64_e32 v[98:99], v[42:43], v[10:11]
	v_mul_f64_e32 v[10:11], s[30:31], v[196:197]
	s_delay_alu instid0(VALU_DEP_3) | instskip(SKIP_1) | instid1(VALU_DEP_3)
	v_add_f64_e32 v[102:103], v[22:23], v[8:9]
	v_mul_f64_e32 v[8:9], s[28:29], v[216:217]
	v_fma_f64 v[42:43], v[150:151], s[26:27], -v[10:11]
	v_fma_f64 v[10:11], v[150:151], s[26:27], v[10:11]
	s_delay_alu instid0(VALU_DEP_2) | instskip(NEXT) | instid1(VALU_DEP_2)
	v_add_f64_e32 v[96:97], v[42:43], v[24:25]
	v_add_f64_e32 v[100:101], v[10:11], v[20:21]
	v_fma_f64 v[10:11], v[212:213], s[26:27], v[8:9]
	v_fma_f64 v[8:9], v[212:213], s[26:27], -v[8:9]
	v_mul_f64_e32 v[24:25], s[16:17], v[176:177]
	v_mul_f64_e32 v[20:21], s[28:29], v[218:219]
	;; [unrolled: 1-line block ×3, first 2 shown]
	v_add_f64_e32 v[212:213], v[230:231], v[10:11]
	v_add_f64_e32 v[8:9], v[230:231], v[8:9]
	v_fma_f64 v[26:27], v[110:111], s[2:3], -v[24:25]
	v_fma_f64 v[22:23], v[214:215], s[26:27], -v[20:21]
	v_fma_f64 v[20:21], v[214:215], s[26:27], v[20:21]
	v_fma_f64 v[24:25], v[110:111], s[2:3], v[24:25]
	s_delay_alu instid0(VALU_DEP_4) | instskip(SKIP_1) | instid1(VALU_DEP_4)
	v_add_f64_e32 v[8:9], v[26:27], v[8:9]
	v_mul_f64_e32 v[26:27], s[18:19], v[182:183]
	v_add_f64_e32 v[10:11], v[228:229], v[20:21]
	v_add_f64_e32 v[214:215], v[228:229], v[22:23]
	;; [unrolled: 1-line block ×5, first 2 shown]
	v_fma_f64 v[28:29], v[124:125], s[8:9], -v[26:27]
	v_fma_f64 v[26:27], v[124:125], s[8:9], v[26:27]
	s_delay_alu instid0(VALU_DEP_4) | instskip(NEXT) | instid1(VALU_DEP_4)
	v_add_f64_e32 v[20:21], v[20:21], v[170:171]
	v_add_f64_e32 v[22:23], v[22:23], v[168:169]
	s_delay_alu instid0(VALU_DEP_4) | instskip(SKIP_4) | instid1(VALU_DEP_4)
	v_add_f64_e32 v[8:9], v[28:29], v[8:9]
	v_mul_f64_e32 v[28:29], s[20:21], v[186:187]
	v_add_f64_e32 v[24:25], v[26:27], v[24:25]
	v_add_f64_e32 v[20:21], v[20:21], v[166:167]
	;; [unrolled: 1-line block ×3, first 2 shown]
	v_fma_f64 v[30:31], v[130:131], s[10:11], -v[28:29]
	v_fma_f64 v[28:29], v[130:131], s[10:11], v[28:29]
	s_delay_alu instid0(VALU_DEP_4) | instskip(NEXT) | instid1(VALU_DEP_4)
	v_add_f64_e32 v[20:21], v[20:21], v[162:163]
	v_add_f64_e32 v[22:23], v[22:23], v[160:161]
	s_delay_alu instid0(VALU_DEP_4)
	v_add_f64_e32 v[8:9], v[30:31], v[8:9]
	v_mul_f64_e32 v[30:31], s[22:23], v[198:199]
	v_add_f64_e32 v[24:25], v[28:29], v[24:25]
	v_fma_f64 v[28:29], v[142:143], s[14:15], v[42:43]
	v_add_f64_e32 v[20:21], v[20:21], v[158:159]
	v_add_f64_e32 v[22:23], v[22:23], v[156:157]
	v_fma_f64 v[32:33], v[134:135], s[12:13], -v[30:31]
	v_fma_f64 v[30:31], v[134:135], s[12:13], v[30:31]
	s_delay_alu instid0(VALU_DEP_4) | instskip(NEXT) | instid1(VALU_DEP_4)
	v_add_f64_e32 v[20:21], v[20:21], v[154:155]
	v_add_f64_e32 v[22:23], v[22:23], v[148:149]
	s_delay_alu instid0(VALU_DEP_4) | instskip(SKIP_4) | instid1(VALU_DEP_4)
	v_add_f64_e32 v[8:9], v[32:33], v[8:9]
	v_mul_f64_e32 v[32:33], s[16:17], v[178:179]
	v_add_f64_e32 v[24:25], v[30:31], v[24:25]
	v_add_f64_e32 v[20:21], v[20:21], v[152:153]
	;; [unrolled: 1-line block ×3, first 2 shown]
	v_fma_f64 v[34:35], v[118:119], s[2:3], v[32:33]
	v_fma_f64 v[32:33], v[118:119], s[2:3], -v[32:33]
	s_delay_alu instid0(VALU_DEP_4) | instskip(NEXT) | instid1(VALU_DEP_4)
	v_add_f64_e32 v[20:21], v[20:21], v[136:137]
	v_add_f64_e32 v[22:23], v[22:23], v[128:129]
	s_delay_alu instid0(VALU_DEP_4) | instskip(SKIP_4) | instid1(VALU_DEP_4)
	v_add_f64_e32 v[10:11], v[34:35], v[10:11]
	v_mul_f64_e32 v[34:35], s[18:19], v[180:181]
	v_add_f64_e32 v[32:33], v[32:33], v[214:215]
	v_add_f64_e32 v[20:21], v[20:21], v[122:123]
	;; [unrolled: 1-line block ×3, first 2 shown]
	v_fma_f64 v[36:37], v[126:127], s[8:9], v[34:35]
	v_fma_f64 v[34:35], v[126:127], s[8:9], -v[34:35]
	s_delay_alu instid0(VALU_DEP_4) | instskip(NEXT) | instid1(VALU_DEP_4)
	v_add_f64_e32 v[20:21], v[20:21], v[114:115]
	v_add_f64_e32 v[22:23], v[22:23], v[112:113]
	s_delay_alu instid0(VALU_DEP_4) | instskip(SKIP_4) | instid1(VALU_DEP_4)
	v_add_f64_e32 v[10:11], v[36:37], v[10:11]
	v_mul_f64_e32 v[36:37], s[20:21], v[184:185]
	v_add_f64_e32 v[26:27], v[34:35], v[32:33]
	v_add_f64_e32 v[20:21], v[20:21], v[108:109]
	v_fma_f64 v[34:35], v[150:151], s[14:15], -v[44:45]
	v_fma_f64 v[38:39], v[132:133], s[10:11], v[36:37]
	v_fma_f64 v[36:37], v[132:133], s[10:11], -v[36:37]
	s_delay_alu instid0(VALU_DEP_2) | instskip(SKIP_1) | instid1(VALU_DEP_3)
	v_add_f64_e32 v[10:11], v[38:39], v[10:11]
	v_mul_f64_e32 v[38:39], s[22:23], v[188:189]
	v_add_f64_e32 v[26:27], v[36:37], v[26:27]
	s_delay_alu instid0(VALU_DEP_2) | instskip(SKIP_1) | instid1(VALU_DEP_2)
	v_fma_f64 v[32:33], v[138:139], s[12:13], -v[38:39]
	v_fma_f64 v[40:41], v[138:139], s[12:13], v[38:39]
	v_add_f64_e32 v[30:31], v[32:33], v[26:27]
	v_add_f64_e32 v[26:27], v[28:29], v[24:25]
	s_clause 0x1
	scratch_load_b32 v28, off, off offset:436 th:TH_LOAD_LU
	scratch_load_b32 v29, off, off offset:4 th:TH_LOAD_LU
	v_add_f64_e32 v[40:41], v[40:41], v[10:11]
	v_fma_f64 v[10:11], v[142:143], s[14:15], -v[42:43]
	v_add_f64_e32 v[24:25], v[34:35], v[30:31]
	s_delay_alu instid0(VALU_DEP_2) | instskip(SKIP_1) | instid1(VALU_DEP_1)
	v_add_f64_e32 v[10:11], v[10:11], v[8:9]
	v_fma_f64 v[8:9], v[150:151], s[14:15], v[44:45]
	v_add_f64_e32 v[8:9], v[8:9], v[40:41]
	v_add_f64_e32 v[40:41], v[22:23], v[104:105]
	;; [unrolled: 1-line block ×3, first 2 shown]
	s_delay_alu instid0(VALU_DEP_2) | instskip(SKIP_3) | instid1(VALU_DEP_1)
	v_add_f64_e32 v[20:21], v[40:41], v[106:107]
	s_wait_loadcnt 0x1
	v_mul_u32_u24_e32 v28, 52, v28
	s_wait_loadcnt 0x0
	v_or_b32_e32 v28, v28, v29
	s_delay_alu instid0(VALU_DEP_1)
	v_lshlrev_b32_e32 v28, 4, v28
	ds_store_b128 v28, v[8:11] offset:64
	ds_store_b128 v28, v[100:103] offset:128
	;; [unrolled: 1-line block ×11, first 2 shown]
	ds_store_b128 v28, v[20:23]
	ds_store_b128 v28, v[24:27] offset:768
.LBB0_9:
	s_or_b32 exec_lo, exec_lo, s33
	global_wb scope:SCOPE_SE
	s_wait_dscnt 0x0
	s_barrier_signal -1
	s_barrier_wait -1
	global_inv scope:SCOPE_SE
	s_clause 0x1
	scratch_load_b128 v[34:37], off, off offset:496 th:TH_LOAD_LU
	scratch_load_b128 v[38:41], off, off offset:512 th:TH_LOAD_LU
	ds_load_b128 v[8:11], v242 offset:9984
	s_clause 0x1
	scratch_load_b128 v[42:45], off, off offset:528 th:TH_LOAD_LU
	scratch_load_b128 v[64:67], off, off offset:544 th:TH_LOAD_LU
	s_mov_b32 s2, 0xe8584caa
	s_mov_b32 s3, 0xbfebb67a
	;; [unrolled: 1-line block ×3, first 2 shown]
	s_wait_alu 0xfffe
	s_mov_b32 s8, s2
	s_wait_dscnt 0x0
	v_mul_f64_e32 v[20:21], v[146:147], v[10:11]
	s_delay_alu instid0(VALU_DEP_1) | instskip(SKIP_1) | instid1(VALU_DEP_1)
	v_fma_f64 v[20:21], v[144:145], v[8:9], v[20:21]
	v_mul_f64_e32 v[8:9], v[146:147], v[8:9]
	v_fma_f64 v[22:23], v[144:145], v[10:11], -v[8:9]
	ds_load_b128 v[8:11], v242 offset:10816
	s_wait_dscnt 0x0
	v_mul_f64_e32 v[24:25], v[146:147], v[10:11]
	s_delay_alu instid0(VALU_DEP_1) | instskip(SKIP_1) | instid1(VALU_DEP_1)
	v_fma_f64 v[28:29], v[144:145], v[8:9], v[24:25]
	v_mul_f64_e32 v[8:9], v[146:147], v[8:9]
	v_fma_f64 v[30:31], v[144:145], v[10:11], -v[8:9]
	ds_load_b128 v[8:11], v242 offset:11648
	s_wait_loadcnt_dscnt 0x300
	v_mul_f64_e32 v[24:25], v[36:37], v[10:11]
	s_delay_alu instid0(VALU_DEP_1) | instskip(SKIP_1) | instid1(VALU_DEP_1)
	v_fma_f64 v[32:33], v[34:35], v[8:9], v[24:25]
	v_mul_f64_e32 v[8:9], v[36:37], v[8:9]
	v_fma_f64 v[34:35], v[34:35], v[10:11], -v[8:9]
	ds_load_b128 v[8:11], v242 offset:12480
	s_wait_loadcnt_dscnt 0x200
	;; [unrolled: 7-line block ×4, first 2 shown]
	v_mul_f64_e32 v[24:25], v[66:67], v[10:11]
	s_delay_alu instid0(VALU_DEP_1) | instskip(SKIP_1) | instid1(VALU_DEP_1)
	v_fma_f64 v[44:45], v[64:65], v[8:9], v[24:25]
	v_mul_f64_e32 v[8:9], v[66:67], v[8:9]
	v_fma_f64 v[46:47], v[64:65], v[10:11], -v[8:9]
	scratch_load_b128 v[64:67], off, off offset:560 th:TH_LOAD_LU ; 16-byte Folded Reload
	ds_load_b128 v[8:11], v242 offset:14976
	s_wait_loadcnt_dscnt 0x0
	v_mul_f64_e32 v[24:25], v[66:67], v[10:11]
	s_delay_alu instid0(VALU_DEP_1) | instskip(SKIP_1) | instid1(VALU_DEP_1)
	v_fma_f64 v[108:109], v[64:65], v[8:9], v[24:25]
	v_mul_f64_e32 v[8:9], v[66:67], v[8:9]
	v_fma_f64 v[110:111], v[64:65], v[10:11], -v[8:9]
	scratch_load_b128 v[64:67], off, off offset:576 th:TH_LOAD_LU ; 16-byte Folded Reload
	ds_load_b128 v[8:11], v242 offset:15808
	s_wait_loadcnt_dscnt 0x0
	;; [unrolled: 8-line block ×6, first 2 shown]
	v_mul_f64_e32 v[24:25], v[66:67], v[10:11]
	s_delay_alu instid0(VALU_DEP_1)
	v_fma_f64 v[128:129], v[64:65], v[8:9], v[24:25]
	v_mul_f64_e32 v[8:9], v[66:67], v[8:9]
	ds_load_b128 v[24:27], v242 offset:832
	s_wait_dscnt 0x0
	v_add_f64_e64 v[28:29], v[24:25], -v[28:29]
	v_add_f64_e64 v[30:31], v[26:27], -v[30:31]
	v_fma_f64 v[130:131], v[64:65], v[10:11], -v[8:9]
	ds_load_b128 v[8:11], v242
	ds_load_b128 v[64:67], v242 offset:1664
	ds_load_b128 v[72:75], v242 offset:2496
	;; [unrolled: 1-line block ×10, first 2 shown]
	global_wb scope:SCOPE_SE
	s_wait_dscnt 0x0
	s_barrier_signal -1
	s_barrier_wait -1
	global_inv scope:SCOPE_SE
	v_add_f64_e64 v[20:21], v[8:9], -v[20:21]
	v_add_f64_e64 v[22:23], v[10:11], -v[22:23]
	;; [unrolled: 1-line block ×4, first 2 shown]
	v_fma_f64 v[24:25], v[24:25], 2.0, -v[28:29]
	v_fma_f64 v[26:27], v[26:27], 2.0, -v[30:31]
	;; [unrolled: 1-line block ×6, first 2 shown]
	ds_store_b128 v242, v[20:23] offset:832
	ds_store_b128 v242, v[28:31] offset:2496
	ds_store_b128 v242, v[8:11]
	ds_store_b128 v242, v[24:27] offset:1664
	scratch_load_b32 v8, off, off offset:472 th:TH_LOAD_LU ; 4-byte Folded Reload
	v_add_f64_e64 v[10:11], v[74:75], -v[38:39]
	s_wait_loadcnt 0x0
	ds_store_b128 v8, v[64:67] offset:3328
	ds_store_b128 v8, v[68:71] offset:4160
	scratch_load_b32 v24, off, off offset:488 th:TH_LOAD_LU ; 4-byte Folded Reload
	v_add_f64_e64 v[8:9], v[72:73], -v[36:37]
	v_fma_f64 v[22:23], v[74:75], 2.0, -v[10:11]
	s_delay_alu instid0(VALU_DEP_2)
	v_fma_f64 v[20:21], v[72:73], 2.0, -v[8:9]
	s_wait_loadcnt 0x0
	ds_store_b128 v24, v[20:23] offset:4992
	ds_store_b128 v24, v[8:11] offset:5824
	scratch_load_b32 v24, off, off offset:480 th:TH_LOAD_LU ; 4-byte Folded Reload
	v_add_f64_e64 v[8:9], v[76:77], -v[40:41]
	v_add_f64_e64 v[10:11], v[78:79], -v[42:43]
	s_delay_alu instid0(VALU_DEP_2) | instskip(NEXT) | instid1(VALU_DEP_2)
	v_fma_f64 v[20:21], v[76:77], 2.0, -v[8:9]
	v_fma_f64 v[22:23], v[78:79], 2.0, -v[10:11]
	s_wait_loadcnt 0x0
	ds_store_b128 v24, v[20:23] offset:6656
	ds_store_b128 v24, v[8:11] offset:7488
	scratch_load_b32 v24, off, off offset:464 th:TH_LOAD_LU ; 4-byte Folded Reload
	v_add_f64_e64 v[8:9], v[80:81], -v[44:45]
	v_add_f64_e64 v[10:11], v[82:83], -v[46:47]
	s_delay_alu instid0(VALU_DEP_2) | instskip(NEXT) | instid1(VALU_DEP_2)
	v_fma_f64 v[20:21], v[80:81], 2.0, -v[8:9]
	;; [unrolled: 9-line block ×8, first 2 shown]
	v_fma_f64 v[22:23], v[106:107], 2.0, -v[10:11]
	s_wait_loadcnt 0x0
	ds_store_b128 v24, v[20:23] offset:18304
	ds_store_b128 v24, v[8:11] offset:19136
	global_wb scope:SCOPE_SE
	s_wait_dscnt 0x0
	s_barrier_signal -1
	s_barrier_wait -1
	global_inv scope:SCOPE_SE
	ds_load_b128 v[8:11], v242 offset:6656
	ds_load_b128 v[96:99], v242 offset:3328
	scratch_load_b128 v[68:71], off, off offset:656 th:TH_LOAD_LU ; 16-byte Folded Reload
	ds_load_b128 v[72:75], v242 offset:1664
	ds_load_b128 v[84:87], v242 offset:2496
	s_wait_dscnt 0x3
	v_mul_f64_e32 v[20:21], v[194:195], v[10:11]
	s_delay_alu instid0(VALU_DEP_1) | instskip(SKIP_1) | instid1(VALU_DEP_1)
	v_fma_f64 v[20:21], v[192:193], v[8:9], v[20:21]
	v_mul_f64_e32 v[8:9], v[194:195], v[8:9]
	v_fma_f64 v[22:23], v[192:193], v[10:11], -v[8:9]
	ds_load_b128 v[8:11], v242 offset:8320
	s_wait_dscnt 0x0
	v_mul_f64_e32 v[24:25], v[194:195], v[10:11]
	s_delay_alu instid0(VALU_DEP_1) | instskip(SKIP_1) | instid1(VALU_DEP_1)
	v_fma_f64 v[32:33], v[192:193], v[8:9], v[24:25]
	v_mul_f64_e32 v[8:9], v[194:195], v[8:9]
	v_fma_f64 v[34:35], v[192:193], v[10:11], -v[8:9]
	ds_load_b128 v[8:11], v242 offset:13312
	s_wait_dscnt 0x0
	v_mul_f64_e32 v[24:25], v[210:211], v[10:11]
	s_delay_alu instid0(VALU_DEP_1) | instskip(SKIP_1) | instid1(VALU_DEP_1)
	v_fma_f64 v[24:25], v[208:209], v[8:9], v[24:25]
	v_mul_f64_e32 v[8:9], v[210:211], v[8:9]
	v_fma_f64 v[26:27], v[208:209], v[10:11], -v[8:9]
	ds_load_b128 v[8:11], v242 offset:14976
	s_wait_dscnt 0x0
	v_mul_f64_e32 v[28:29], v[210:211], v[10:11]
	v_add_f64_e32 v[30:31], v[22:23], v[26:27]
	s_delay_alu instid0(VALU_DEP_2) | instskip(SKIP_1) | instid1(VALU_DEP_1)
	v_fma_f64 v[36:37], v[208:209], v[8:9], v[28:29]
	v_mul_f64_e32 v[8:9], v[210:211], v[8:9]
	v_fma_f64 v[38:39], v[208:209], v[10:11], -v[8:9]
	ds_load_b128 v[8:11], v242 offset:7488
	s_wait_dscnt 0x0
	v_mul_f64_e32 v[28:29], v[206:207], v[10:11]
	s_delay_alu instid0(VALU_DEP_1) | instskip(SKIP_1) | instid1(VALU_DEP_1)
	v_fma_f64 v[40:41], v[204:205], v[8:9], v[28:29]
	v_mul_f64_e32 v[8:9], v[206:207], v[8:9]
	v_fma_f64 v[42:43], v[204:205], v[10:11], -v[8:9]
	ds_load_b128 v[8:11], v242 offset:9152
	s_wait_dscnt 0x0
	v_mul_f64_e32 v[28:29], v[206:207], v[10:11]
	s_delay_alu instid0(VALU_DEP_1) | instskip(SKIP_1) | instid1(VALU_DEP_1)
	v_fma_f64 v[44:45], v[204:205], v[8:9], v[28:29]
	v_mul_f64_e32 v[8:9], v[206:207], v[8:9]
	v_fma_f64 v[46:47], v[204:205], v[10:11], -v[8:9]
	ds_load_b128 v[8:11], v242 offset:14144
	s_wait_dscnt 0x0
	v_mul_f64_e32 v[28:29], v[202:203], v[10:11]
	s_delay_alu instid0(VALU_DEP_1) | instskip(SKIP_1) | instid1(VALU_DEP_1)
	v_fma_f64 v[64:65], v[200:201], v[8:9], v[28:29]
	v_mul_f64_e32 v[8:9], v[202:203], v[8:9]
	v_fma_f64 v[66:67], v[200:201], v[10:11], -v[8:9]
	ds_load_b128 v[8:11], v242 offset:15808
	s_wait_dscnt 0x0
	v_mul_f64_e32 v[28:29], v[202:203], v[10:11]
	s_delay_alu instid0(VALU_DEP_1) | instskip(SKIP_1) | instid1(VALU_DEP_1)
	v_fma_f64 v[88:89], v[200:201], v[8:9], v[28:29]
	v_mul_f64_e32 v[8:9], v[202:203], v[8:9]
	v_fma_f64 v[90:91], v[200:201], v[10:11], -v[8:9]
	ds_load_b128 v[8:11], v242 offset:9984
	s_wait_loadcnt_dscnt 0x0
	v_mul_f64_e32 v[28:29], v[70:71], v[10:11]
	s_delay_alu instid0(VALU_DEP_1) | instskip(SKIP_1) | instid1(VALU_DEP_1)
	v_fma_f64 v[100:101], v[68:69], v[8:9], v[28:29]
	v_mul_f64_e32 v[8:9], v[70:71], v[8:9]
	v_fma_f64 v[102:103], v[68:69], v[10:11], -v[8:9]
	scratch_load_b128 v[68:71], off, off offset:672 th:TH_LOAD_LU ; 16-byte Folded Reload
	ds_load_b128 v[8:11], v242 offset:16640
	s_wait_loadcnt_dscnt 0x0
	v_mul_f64_e32 v[28:29], v[70:71], v[10:11]
	s_delay_alu instid0(VALU_DEP_1) | instskip(SKIP_1) | instid1(VALU_DEP_1)
	v_fma_f64 v[104:105], v[68:69], v[8:9], v[28:29]
	v_mul_f64_e32 v[8:9], v[70:71], v[8:9]
	v_fma_f64 v[106:107], v[68:69], v[10:11], -v[8:9]
	scratch_load_b128 v[68:71], off, off offset:688 th:TH_LOAD_LU ; 16-byte Folded Reload
	;; [unrolled: 8-line block ×7, first 2 shown]
	ds_load_b128 v[8:11], v242 offset:19136
	s_wait_loadcnt_dscnt 0x0
	v_mul_f64_e32 v[28:29], v[70:71], v[10:11]
	s_delay_alu instid0(VALU_DEP_1) | instskip(SKIP_3) | instid1(VALU_DEP_3)
	v_fma_f64 v[140:141], v[68:69], v[8:9], v[28:29]
	v_mul_f64_e32 v[8:9], v[70:71], v[8:9]
	v_add_f64_e32 v[28:29], v[20:21], v[24:25]
	v_add_f64_e32 v[70:71], v[42:43], v[66:67]
	v_fma_f64 v[142:143], v[68:69], v[10:11], -v[8:9]
	ds_load_b128 v[8:11], v242
	v_add_f64_e32 v[68:69], v[40:41], v[64:65]
	s_wait_dscnt 0x0
	v_fma_f64 v[30:31], v[30:31], -0.5, v[10:11]
	v_add_f64_e32 v[10:11], v[10:11], v[22:23]
	v_fma_f64 v[28:29], v[28:29], -0.5, v[8:9]
	v_add_f64_e32 v[8:9], v[8:9], v[20:21]
	v_add_f64_e64 v[22:23], v[22:23], -v[26:27]
	s_delay_alu instid0(VALU_DEP_4) | instskip(SKIP_1) | instid1(VALU_DEP_4)
	v_add_f64_e32 v[10:11], v[10:11], v[26:27]
	v_add_f64_e64 v[26:27], v[20:21], -v[24:25]
	v_add_f64_e32 v[8:9], v[8:9], v[24:25]
	s_delay_alu instid0(VALU_DEP_4) | instskip(SKIP_2) | instid1(VALU_DEP_4)
	v_fma_f64 v[20:21], v[22:23], s[2:3], v[28:29]
	s_wait_alu 0xfffe
	v_fma_f64 v[24:25], v[22:23], s[8:9], v[28:29]
	v_fma_f64 v[22:23], v[26:27], s[8:9], v[30:31]
	;; [unrolled: 1-line block ×3, first 2 shown]
	ds_load_b128 v[28:31], v242 offset:832
	ds_load_b128 v[108:111], v242 offset:4160
	;; [unrolled: 1-line block ×4, first 2 shown]
	global_wb scope:SCOPE_SE
	s_wait_dscnt 0x0
	s_barrier_signal -1
	s_barrier_wait -1
	global_inv scope:SCOPE_SE
	v_fma_f64 v[68:69], v[68:69], -0.5, v[28:29]
	v_fma_f64 v[70:71], v[70:71], -0.5, v[30:31]
	v_add_f64_e32 v[30:31], v[30:31], v[42:43]
	v_add_f64_e32 v[28:29], v[28:29], v[40:41]
	v_add_f64_e64 v[42:43], v[42:43], -v[66:67]
	v_add_f64_e64 v[40:41], v[40:41], -v[64:65]
	s_delay_alu instid0(VALU_DEP_4) | instskip(NEXT) | instid1(VALU_DEP_4)
	v_add_f64_e32 v[30:31], v[30:31], v[66:67]
	v_add_f64_e32 v[28:29], v[28:29], v[64:65]
	s_delay_alu instid0(VALU_DEP_4)
	v_fma_f64 v[64:65], v[42:43], s[2:3], v[68:69]
	v_fma_f64 v[68:69], v[42:43], s[8:9], v[68:69]
	;; [unrolled: 1-line block ×4, first 2 shown]
	v_add_f64_e32 v[40:41], v[32:33], v[36:37]
	v_add_f64_e32 v[42:43], v[34:35], v[38:39]
	s_delay_alu instid0(VALU_DEP_2) | instskip(NEXT) | instid1(VALU_DEP_2)
	v_fma_f64 v[40:41], v[40:41], -0.5, v[72:73]
	v_fma_f64 v[42:43], v[42:43], -0.5, v[74:75]
	v_add_f64_e32 v[74:75], v[74:75], v[34:35]
	v_add_f64_e32 v[72:73], v[72:73], v[32:33]
	v_add_f64_e64 v[34:35], v[34:35], -v[38:39]
	v_add_f64_e64 v[32:33], v[32:33], -v[36:37]
	s_delay_alu instid0(VALU_DEP_4) | instskip(NEXT) | instid1(VALU_DEP_4)
	v_add_f64_e32 v[74:75], v[74:75], v[38:39]
	v_add_f64_e32 v[72:73], v[72:73], v[36:37]
	s_delay_alu instid0(VALU_DEP_4)
	v_fma_f64 v[76:77], v[34:35], s[2:3], v[40:41]
	v_fma_f64 v[80:81], v[34:35], s[8:9], v[40:41]
	;; [unrolled: 1-line block ×4, first 2 shown]
	v_add_f64_e32 v[32:33], v[44:45], v[88:89]
	v_add_f64_e32 v[34:35], v[46:47], v[90:91]
	;; [unrolled: 1-line block ×4, first 2 shown]
	v_add_f64_e64 v[40:41], v[46:47], -v[90:91]
	v_fma_f64 v[32:33], v[32:33], -0.5, v[84:85]
	v_fma_f64 v[34:35], v[34:35], -0.5, v[86:87]
	v_add_f64_e32 v[86:87], v[36:37], v[90:91]
	v_add_f64_e64 v[36:37], v[44:45], -v[88:89]
	v_add_f64_e32 v[84:85], v[38:39], v[88:89]
	v_add_f64_e32 v[38:39], v[96:97], v[100:101]
	v_fma_f64 v[88:89], v[40:41], s[2:3], v[32:33]
	v_fma_f64 v[92:93], v[40:41], s[8:9], v[32:33]
	v_add_f64_e32 v[32:33], v[100:101], v[104:105]
	v_fma_f64 v[90:91], v[36:37], s[8:9], v[34:35]
	v_fma_f64 v[94:95], v[36:37], s[2:3], v[34:35]
	ds_store_b128 v242, v[8:11]
	ds_store_b128 v242, v[28:31] offset:832
	ds_store_b128 v242, v[72:75] offset:4992
	ds_store_b128 v242, v[84:87] offset:5824
	ds_store_b128 v242, v[20:23] offset:1664
	ds_store_b128 v242, v[64:67] offset:2496
	ds_store_b128 v242, v[24:27] offset:3328
	ds_store_b128 v242, v[68:71] offset:4160
	ds_store_b128 v242, v[76:79] offset:6656
	ds_store_b128 v242, v[88:91] offset:7488
	ds_store_b128 v242, v[80:83] offset:8320
	ds_store_b128 v242, v[92:95] offset:9152
	scratch_load_b32 v8, off, off offset:828 th:TH_LOAD_LU ; 4-byte Folded Reload
	v_add_f64_e32 v[34:35], v[102:103], v[106:107]
	v_add_f64_e32 v[36:37], v[98:99], v[102:103]
	v_add_f64_e64 v[40:41], v[102:103], -v[106:107]
	v_add_f64_e32 v[20:21], v[108:109], v[120:121]
	v_add_f64_e64 v[24:25], v[122:123], -v[126:127]
	v_add_f64_e64 v[28:29], v[120:121], -v[124:125]
	v_fma_f64 v[32:33], v[32:33], -0.5, v[96:97]
	v_add_f64_e32 v[96:97], v[38:39], v[104:105]
	v_fma_f64 v[34:35], v[34:35], -0.5, v[98:99]
	v_add_f64_e32 v[98:99], v[36:37], v[106:107]
	v_add_f64_e64 v[36:37], v[100:101], -v[104:105]
	v_fma_f64 v[100:101], v[40:41], s[2:3], v[32:33]
	v_fma_f64 v[104:105], v[40:41], s[8:9], v[32:33]
	s_delay_alu instid0(VALU_DEP_3)
	v_fma_f64 v[102:103], v[36:37], s[8:9], v[34:35]
	v_fma_f64 v[106:107], v[36:37], s[2:3], v[34:35]
	s_wait_loadcnt 0x0
	ds_store_b128 v8, v[96:99] offset:9984
	ds_store_b128 v8, v[100:103] offset:11648
	;; [unrolled: 1-line block ×3, first 2 shown]
	v_add_f64_e32 v[8:9], v[120:121], v[124:125]
	s_delay_alu instid0(VALU_DEP_1) | instskip(SKIP_1) | instid1(VALU_DEP_1)
	v_fma_f64 v[22:23], v[8:9], -0.5, v[108:109]
	v_add_f64_e32 v[8:9], v[122:123], v[126:127]
	v_fma_f64 v[26:27], v[8:9], -0.5, v[110:111]
	v_add_f64_e32 v[8:9], v[110:111], v[122:123]
	s_delay_alu instid0(VALU_DEP_1)
	v_add_f64_e32 v[10:11], v[8:9], v[126:127]
	v_add_f64_e32 v[8:9], v[20:21], v[124:125]
	v_fma_f64 v[20:21], v[24:25], s[2:3], v[22:23]
	v_fma_f64 v[24:25], v[24:25], s[8:9], v[22:23]
	;; [unrolled: 1-line block ×4, first 2 shown]
	scratch_load_b32 v28, off, off offset:812 th:TH_LOAD_LU ; 4-byte Folded Reload
	s_wait_loadcnt 0x0
	ds_store_b128 v28, v[8:11] offset:9984
	ds_store_b128 v28, v[20:23] offset:11648
	;; [unrolled: 1-line block ×3, first 2 shown]
	v_add_f64_e32 v[8:9], v[128:129], v[132:133]
	v_add_f64_e32 v[20:21], v[112:113], v[128:129]
	v_add_f64_e64 v[24:25], v[130:131], -v[134:135]
	v_add_f64_e64 v[28:29], v[128:129], -v[132:133]
	s_delay_alu instid0(VALU_DEP_4) | instskip(SKIP_1) | instid1(VALU_DEP_1)
	v_fma_f64 v[22:23], v[8:9], -0.5, v[112:113]
	v_add_f64_e32 v[8:9], v[130:131], v[134:135]
	v_fma_f64 v[26:27], v[8:9], -0.5, v[114:115]
	v_add_f64_e32 v[8:9], v[114:115], v[130:131]
	s_delay_alu instid0(VALU_DEP_1)
	v_add_f64_e32 v[10:11], v[8:9], v[134:135]
	v_add_f64_e32 v[8:9], v[20:21], v[132:133]
	v_fma_f64 v[20:21], v[24:25], s[2:3], v[22:23]
	v_fma_f64 v[24:25], v[24:25], s[8:9], v[22:23]
	;; [unrolled: 1-line block ×4, first 2 shown]
	scratch_load_b32 v28, off, off offset:740 th:TH_LOAD_LU ; 4-byte Folded Reload
	s_wait_loadcnt 0x0
	ds_store_b128 v28, v[8:11] offset:14976
	ds_store_b128 v28, v[20:23] offset:16640
	;; [unrolled: 1-line block ×3, first 2 shown]
	v_add_f64_e32 v[8:9], v[136:137], v[140:141]
	v_add_f64_e32 v[20:21], v[116:117], v[136:137]
	v_add_f64_e64 v[24:25], v[138:139], -v[142:143]
	v_add_f64_e64 v[28:29], v[136:137], -v[140:141]
	s_delay_alu instid0(VALU_DEP_4) | instskip(SKIP_1) | instid1(VALU_DEP_1)
	v_fma_f64 v[22:23], v[8:9], -0.5, v[116:117]
	v_add_f64_e32 v[8:9], v[138:139], v[142:143]
	v_fma_f64 v[26:27], v[8:9], -0.5, v[118:119]
	v_add_f64_e32 v[8:9], v[118:119], v[138:139]
	s_delay_alu instid0(VALU_DEP_1)
	v_add_f64_e32 v[10:11], v[8:9], v[142:143]
	v_add_f64_e32 v[8:9], v[20:21], v[140:141]
	v_fma_f64 v[20:21], v[24:25], s[2:3], v[22:23]
	v_fma_f64 v[24:25], v[24:25], s[8:9], v[22:23]
	;; [unrolled: 1-line block ×4, first 2 shown]
	scratch_load_b32 v28, off, off offset:720 th:TH_LOAD_LU ; 4-byte Folded Reload
	s_mov_b32 s2, 0x1a41a41a
	s_mov_b32 s3, 0x3f4a41a4
	s_wait_loadcnt 0x0
	ds_store_b128 v28, v[8:11] offset:14976
	ds_store_b128 v28, v[20:23] offset:16640
	;; [unrolled: 1-line block ×3, first 2 shown]
	global_wb scope:SCOPE_SE
	s_wait_dscnt 0x0
	s_barrier_signal -1
	s_barrier_wait -1
	global_inv scope:SCOPE_SE
	ds_load_b128 v[8:11], v242 offset:9984
	ds_load_b128 v[64:67], v242 offset:3328
	;; [unrolled: 1-line block ×9, first 2 shown]
	s_wait_dscnt 0x8
	v_mul_f64_e32 v[20:21], v[226:227], v[10:11]
	s_delay_alu instid0(VALU_DEP_1) | instskip(SKIP_1) | instid1(VALU_DEP_1)
	v_fma_f64 v[20:21], v[224:225], v[8:9], v[20:21]
	v_mul_f64_e32 v[8:9], v[226:227], v[8:9]
	v_fma_f64 v[22:23], v[224:225], v[10:11], -v[8:9]
	ds_load_b128 v[8:11], v242 offset:14976
	s_wait_dscnt 0x0
	v_mul_f64_e32 v[24:25], v[226:227], v[10:11]
	s_delay_alu instid0(VALU_DEP_1) | instskip(SKIP_1) | instid1(VALU_DEP_2)
	v_fma_f64 v[32:33], v[224:225], v[8:9], v[24:25]
	v_mul_f64_e32 v[8:9], v[226:227], v[8:9]
	v_add_f64_e64 v[84:85], v[80:81], -v[32:33]
	s_delay_alu instid0(VALU_DEP_2)
	v_fma_f64 v[34:35], v[224:225], v[10:11], -v[8:9]
	ds_load_b128 v[8:11], v242 offset:10816
	s_wait_dscnt 0x0
	v_mul_f64_e32 v[24:25], v[18:19], v[10:11]
	v_fma_f64 v[80:81], v[80:81], 2.0, -v[84:85]
	v_add_f64_e64 v[86:87], v[82:83], -v[34:35]
	s_delay_alu instid0(VALU_DEP_3) | instskip(SKIP_1) | instid1(VALU_DEP_3)
	v_fma_f64 v[24:25], v[16:17], v[8:9], v[24:25]
	v_mul_f64_e32 v[8:9], v[18:19], v[8:9]
	v_fma_f64 v[82:83], v[82:83], 2.0, -v[86:87]
	s_delay_alu instid0(VALU_DEP_2) | instskip(SKIP_3) | instid1(VALU_DEP_1)
	v_fma_f64 v[26:27], v[16:17], v[10:11], -v[8:9]
	ds_load_b128 v[8:11], v242 offset:15808
	s_wait_dscnt 0x0
	v_mul_f64_e32 v[28:29], v[18:19], v[10:11]
	v_fma_f64 v[36:37], v[16:17], v[8:9], v[28:29]
	v_mul_f64_e32 v[8:9], v[18:19], v[8:9]
	s_delay_alu instid0(VALU_DEP_2) | instskip(NEXT) | instid1(VALU_DEP_2)
	v_add_f64_e64 v[92:93], v[88:89], -v[36:37]
	v_fma_f64 v[38:39], v[16:17], v[10:11], -v[8:9]
	ds_load_b128 v[8:11], v242 offset:11648
	s_wait_dscnt 0x0
	v_mul_f64_e32 v[16:17], v[14:15], v[10:11]
	v_fma_f64 v[88:89], v[88:89], 2.0, -v[92:93]
	v_add_f64_e64 v[94:95], v[90:91], -v[38:39]
	s_delay_alu instid0(VALU_DEP_3) | instskip(SKIP_1) | instid1(VALU_DEP_3)
	v_fma_f64 v[28:29], v[12:13], v[8:9], v[16:17]
	v_mul_f64_e32 v[8:9], v[14:15], v[8:9]
	v_fma_f64 v[90:91], v[90:91], 2.0, -v[94:95]
	s_delay_alu instid0(VALU_DEP_2) | instskip(SKIP_3) | instid1(VALU_DEP_1)
	v_fma_f64 v[30:31], v[12:13], v[10:11], -v[8:9]
	ds_load_b128 v[8:11], v242 offset:16640
	s_wait_dscnt 0x0
	v_mul_f64_e32 v[16:17], v[14:15], v[10:11]
	v_fma_f64 v[40:41], v[12:13], v[8:9], v[16:17]
	v_mul_f64_e32 v[8:9], v[14:15], v[8:9]
	ds_load_b128 v[16:19], v242 offset:1664
	v_add_f64_e64 v[100:101], v[96:97], -v[40:41]
	v_fma_f64 v[42:43], v[12:13], v[10:11], -v[8:9]
	ds_load_b128 v[8:11], v242 offset:12480
	s_wait_dscnt 0x0
	v_mul_f64_e32 v[12:13], v[6:7], v[10:11]
	v_fma_f64 v[96:97], v[96:97], 2.0, -v[100:101]
	v_add_f64_e64 v[102:103], v[98:99], -v[42:43]
	s_delay_alu instid0(VALU_DEP_3) | instskip(SKIP_1) | instid1(VALU_DEP_3)
	v_fma_f64 v[44:45], v[4:5], v[8:9], v[12:13]
	v_mul_f64_e32 v[8:9], v[6:7], v[8:9]
	v_fma_f64 v[98:99], v[98:99], 2.0, -v[102:103]
	s_delay_alu instid0(VALU_DEP_2) | instskip(SKIP_4) | instid1(VALU_DEP_2)
	v_fma_f64 v[46:47], v[4:5], v[10:11], -v[8:9]
	ds_load_b128 v[8:11], v242 offset:17472
	s_wait_dscnt 0x0
	v_mul_f64_e32 v[12:13], v[6:7], v[10:11]
	v_mul_f64_e32 v[6:7], v[6:7], v[8:9]
	v_fma_f64 v[108:109], v[4:5], v[8:9], v[12:13]
	s_delay_alu instid0(VALU_DEP_2)
	v_fma_f64 v[110:111], v[4:5], v[10:11], -v[6:7]
	ds_load_b128 v[4:7], v242 offset:13312
	s_wait_dscnt 0x0
	v_mul_f64_e32 v[8:9], v[2:3], v[6:7]
	v_add_f64_e64 v[108:109], v[104:105], -v[108:109]
	v_add_f64_e64 v[110:111], v[106:107], -v[110:111]
	s_delay_alu instid0(VALU_DEP_3) | instskip(SKIP_1) | instid1(VALU_DEP_4)
	v_fma_f64 v[68:69], v[0:1], v[4:5], v[8:9]
	v_mul_f64_e32 v[4:5], v[2:3], v[4:5]
	v_fma_f64 v[104:105], v[104:105], 2.0, -v[108:109]
	s_delay_alu instid0(VALU_DEP_4) | instskip(NEXT) | instid1(VALU_DEP_4)
	v_fma_f64 v[106:107], v[106:107], 2.0, -v[110:111]
	v_add_f64_e64 v[68:69], v[64:65], -v[68:69]
	s_delay_alu instid0(VALU_DEP_4)
	v_fma_f64 v[70:71], v[0:1], v[6:7], -v[4:5]
	ds_load_b128 v[4:7], v242 offset:18304
	s_wait_dscnt 0x0
	v_mul_f64_e32 v[8:9], v[2:3], v[6:7]
	v_mul_f64_e32 v[2:3], v[2:3], v[4:5]
	v_fma_f64 v[64:65], v[64:65], 2.0, -v[68:69]
	v_add_f64_e64 v[70:71], v[66:67], -v[70:71]
	s_delay_alu instid0(VALU_DEP_4) | instskip(NEXT) | instid1(VALU_DEP_4)
	v_fma_f64 v[116:117], v[0:1], v[4:5], v[8:9]
	v_fma_f64 v[118:119], v[0:1], v[6:7], -v[2:3]
	ds_load_b128 v[0:3], v242 offset:14144
	ds_load_b128 v[8:11], v242 offset:832
	v_fma_f64 v[66:67], v[66:67], 2.0, -v[70:71]
	s_wait_dscnt 0x1
	v_mul_f64_e32 v[4:5], v[246:247], v[2:3]
	s_wait_dscnt 0x0
	v_add_f64_e64 v[12:13], v[8:9], -v[24:25]
	v_add_f64_e64 v[14:15], v[10:11], -v[26:27]
	ds_load_b128 v[24:27], v242 offset:2496
	v_add_f64_e64 v[116:117], v[112:113], -v[116:117]
	v_add_f64_e64 v[118:119], v[114:115], -v[118:119]
	v_fma_f64 v[76:77], v[244:245], v[0:1], v[4:5]
	v_mul_f64_e32 v[0:1], v[246:247], v[0:1]
	v_fma_f64 v[8:9], v[8:9], 2.0, -v[12:13]
	v_fma_f64 v[10:11], v[10:11], 2.0, -v[14:15]
	;; [unrolled: 1-line block ×4, first 2 shown]
	v_add_f64_e64 v[76:77], v[72:73], -v[76:77]
	v_fma_f64 v[78:79], v[244:245], v[2:3], -v[0:1]
	ds_load_b128 v[0:3], v242 offset:19136
	s_wait_dscnt 0x0
	v_mul_f64_e32 v[4:5], v[246:247], v[2:3]
	v_fma_f64 v[72:73], v[72:73], 2.0, -v[76:77]
	v_add_f64_e64 v[78:79], v[74:75], -v[78:79]
	s_delay_alu instid0(VALU_DEP_3) | instskip(SKIP_1) | instid1(VALU_DEP_3)
	v_fma_f64 v[124:125], v[244:245], v[0:1], v[4:5]
	v_mul_f64_e32 v[0:1], v[246:247], v[0:1]
	v_fma_f64 v[74:75], v[74:75], 2.0, -v[78:79]
	s_delay_alu instid0(VALU_DEP_3) | instskip(NEXT) | instid1(VALU_DEP_3)
	v_add_f64_e64 v[124:125], v[120:121], -v[124:125]
	v_fma_f64 v[126:127], v[244:245], v[2:3], -v[0:1]
	ds_load_b128 v[0:3], v242
	global_wb scope:SCOPE_SE
	s_wait_dscnt 0x0
	s_barrier_signal -1
	s_barrier_wait -1
	global_inv scope:SCOPE_SE
	v_add_f64_e64 v[4:5], v[0:1], -v[20:21]
	v_add_f64_e64 v[6:7], v[2:3], -v[22:23]
	;; [unrolled: 1-line block ×6, first 2 shown]
	v_fma_f64 v[120:121], v[120:121], 2.0, -v[124:125]
	v_add_f64_e64 v[126:127], v[122:123], -v[126:127]
	v_fma_f64 v[0:1], v[0:1], 2.0, -v[4:5]
	v_fma_f64 v[2:3], v[2:3], 2.0, -v[6:7]
	v_fma_f64 v[16:17], v[16:17], 2.0, -v[20:21]
	v_fma_f64 v[18:19], v[18:19], 2.0, -v[22:23]
	v_fma_f64 v[24:25], v[24:25], 2.0, -v[28:29]
	v_fma_f64 v[26:27], v[26:27], 2.0, -v[30:31]
	v_fma_f64 v[122:123], v[122:123], 2.0, -v[126:127]
	ds_store_b128 v242, v[4:7] offset:4992
	ds_store_b128 v242, v[12:15] offset:5824
	;; [unrolled: 1-line block ×12, first 2 shown]
	ds_store_b128 v242, v[0:3]
	ds_store_b128 v242, v[8:11] offset:832
	ds_store_b128 v242, v[16:19] offset:1664
	;; [unrolled: 1-line block ×11, first 2 shown]
	global_wb scope:SCOPE_SE
	s_wait_dscnt 0x0
	s_barrier_signal -1
	s_barrier_wait -1
	global_inv scope:SCOPE_SE
	s_clause 0x1
	scratch_load_b128 v[6:9], off, off offset:724 th:TH_LOAD_LU
	scratch_load_b128 v[14:17], off, off offset:856 th:TH_LOAD_LU
	ds_load_b128 v[0:3], v242 offset:9984
	ds_load_b128 v[32:35], v242 offset:3328
	;; [unrolled: 1-line block ×6, first 2 shown]
	s_wait_loadcnt_dscnt 0x105
	v_mul_f64_e32 v[4:5], v[8:9], v[2:3]
	s_delay_alu instid0(VALU_DEP_1) | instskip(SKIP_1) | instid1(VALU_DEP_1)
	v_fma_f64 v[4:5], v[6:7], v[0:1], v[4:5]
	v_mul_f64_e32 v[0:1], v[8:9], v[0:1]
	v_fma_f64 v[6:7], v[6:7], v[2:3], -v[0:1]
	ds_load_b128 v[0:3], v242 offset:10816
	s_wait_loadcnt_dscnt 0x0
	v_mul_f64_e32 v[8:9], v[16:17], v[2:3]
	s_delay_alu instid0(VALU_DEP_1)
	v_fma_f64 v[12:13], v[14:15], v[0:1], v[8:9]
	v_mul_f64_e32 v[0:1], v[16:17], v[0:1]
	scratch_load_b128 v[16:19], off, off offset:872 th:TH_LOAD_LU ; 16-byte Folded Reload
	v_fma_f64 v[14:15], v[14:15], v[2:3], -v[0:1]
	ds_load_b128 v[0:3], v242 offset:11648
	s_wait_loadcnt_dscnt 0x0
	v_mul_f64_e32 v[8:9], v[18:19], v[2:3]
	s_delay_alu instid0(VALU_DEP_1) | instskip(SKIP_1) | instid1(VALU_DEP_1)
	v_fma_f64 v[20:21], v[16:17], v[0:1], v[8:9]
	v_mul_f64_e32 v[0:1], v[18:19], v[0:1]
	v_fma_f64 v[22:23], v[16:17], v[2:3], -v[0:1]
	scratch_load_b128 v[16:19], off, off offset:888 th:TH_LOAD_LU ; 16-byte Folded Reload
	ds_load_b128 v[0:3], v242 offset:12480
	s_wait_loadcnt_dscnt 0x0
	v_mul_f64_e32 v[8:9], v[18:19], v[2:3]
	s_delay_alu instid0(VALU_DEP_1) | instskip(SKIP_1) | instid1(VALU_DEP_2)
	v_fma_f64 v[28:29], v[16:17], v[0:1], v[8:9]
	v_mul_f64_e32 v[0:1], v[18:19], v[0:1]
	v_add_f64_e64 v[28:29], v[24:25], -v[28:29]
	s_delay_alu instid0(VALU_DEP_2) | instskip(SKIP_4) | instid1(VALU_DEP_1)
	v_fma_f64 v[30:31], v[16:17], v[2:3], -v[0:1]
	scratch_load_b128 v[16:19], off, off offset:904 th:TH_LOAD_LU ; 16-byte Folded Reload
	ds_load_b128 v[0:3], v242 offset:13312
	v_fma_f64 v[24:25], v[24:25], 2.0, -v[28:29]
	v_add_f64_e64 v[30:31], v[26:27], -v[30:31]
	v_fma_f64 v[26:27], v[26:27], 2.0, -v[30:31]
	s_wait_loadcnt_dscnt 0x0
	v_mul_f64_e32 v[8:9], v[18:19], v[2:3]
	s_delay_alu instid0(VALU_DEP_1) | instskip(SKIP_1) | instid1(VALU_DEP_2)
	v_fma_f64 v[36:37], v[16:17], v[0:1], v[8:9]
	v_mul_f64_e32 v[0:1], v[18:19], v[0:1]
	v_add_f64_e64 v[36:37], v[32:33], -v[36:37]
	s_delay_alu instid0(VALU_DEP_2) | instskip(SKIP_4) | instid1(VALU_DEP_1)
	v_fma_f64 v[38:39], v[16:17], v[2:3], -v[0:1]
	scratch_load_b128 v[16:19], off, off offset:920 th:TH_LOAD_LU ; 16-byte Folded Reload
	ds_load_b128 v[0:3], v242 offset:14144
	v_fma_f64 v[32:33], v[32:33], 2.0, -v[36:37]
	v_add_f64_e64 v[38:39], v[34:35], -v[38:39]
	v_fma_f64 v[34:35], v[34:35], 2.0, -v[38:39]
	;; [unrolled: 13-line block ×3, first 2 shown]
	s_wait_loadcnt_dscnt 0x0
	v_mul_f64_e32 v[8:9], v[18:19], v[2:3]
	s_delay_alu instid0(VALU_DEP_1) | instskip(SKIP_1) | instid1(VALU_DEP_1)
	v_fma_f64 v[64:65], v[16:17], v[0:1], v[8:9]
	v_mul_f64_e32 v[0:1], v[18:19], v[0:1]
	v_fma_f64 v[66:67], v[16:17], v[2:3], -v[0:1]
	scratch_load_b128 v[16:19], off, off offset:952 th:TH_LOAD_LU ; 16-byte Folded Reload
	ds_load_b128 v[0:3], v242 offset:15808
	s_wait_loadcnt_dscnt 0x0
	v_mul_f64_e32 v[8:9], v[18:19], v[2:3]
	s_delay_alu instid0(VALU_DEP_1) | instskip(SKIP_1) | instid1(VALU_DEP_1)
	v_fma_f64 v[68:69], v[16:17], v[0:1], v[8:9]
	v_mul_f64_e32 v[0:1], v[18:19], v[0:1]
	v_fma_f64 v[70:71], v[16:17], v[2:3], -v[0:1]
	ds_load_b128 v[0:3], v242 offset:16640
	ds_load_b128 v[16:19], v242 offset:1664
	s_wait_dscnt 0x1
	v_mul_f64_e32 v[8:9], v[50:51], v[2:3]
	s_wait_dscnt 0x0
	v_add_f64_e64 v[20:21], v[16:17], -v[20:21]
	v_add_f64_e64 v[22:23], v[18:19], -v[22:23]
	s_delay_alu instid0(VALU_DEP_3) | instskip(SKIP_1) | instid1(VALU_DEP_4)
	v_fma_f64 v[72:73], v[48:49], v[0:1], v[8:9]
	v_mul_f64_e32 v[0:1], v[50:51], v[0:1]
	v_fma_f64 v[16:17], v[16:17], 2.0, -v[20:21]
	s_delay_alu instid0(VALU_DEP_4) | instskip(NEXT) | instid1(VALU_DEP_3)
	v_fma_f64 v[18:19], v[18:19], 2.0, -v[22:23]
	v_fma_f64 v[74:75], v[48:49], v[2:3], -v[0:1]
	ds_load_b128 v[0:3], v242 offset:17472
	ds_load_b128 v[48:51], v242 offset:4992
	s_wait_dscnt 0x1
	v_mul_f64_e32 v[8:9], v[54:55], v[2:3]
	s_delay_alu instid0(VALU_DEP_1) | instskip(SKIP_1) | instid1(VALU_DEP_1)
	v_fma_f64 v[76:77], v[52:53], v[0:1], v[8:9]
	v_mul_f64_e32 v[0:1], v[54:55], v[0:1]
	v_fma_f64 v[78:79], v[52:53], v[2:3], -v[0:1]
	ds_load_b128 v[0:3], v242 offset:18304
	s_wait_dscnt 0x0
	v_mul_f64_e32 v[8:9], v[58:59], v[2:3]
	s_delay_alu instid0(VALU_DEP_1) | instskip(SKIP_1) | instid1(VALU_DEP_2)
	v_fma_f64 v[84:85], v[56:57], v[0:1], v[8:9]
	v_mul_f64_e32 v[0:1], v[58:59], v[0:1]
	v_add_f64_e64 v[84:85], v[80:81], -v[84:85]
	s_delay_alu instid0(VALU_DEP_2)
	v_fma_f64 v[86:87], v[56:57], v[2:3], -v[0:1]
	ds_load_b128 v[56:59], v242 offset:5824
	ds_load_b128 v[0:3], v242 offset:19136
	v_add_f64_e64 v[52:53], v[48:49], -v[64:65]
	v_add_f64_e64 v[54:55], v[50:51], -v[66:67]
	ds_load_b128 v[64:67], v242 offset:6656
	s_wait_dscnt 0x1
	v_mul_f64_e32 v[8:9], v[62:63], v[2:3]
	v_fma_f64 v[80:81], v[80:81], 2.0, -v[84:85]
	v_add_f64_e64 v[86:87], v[82:83], -v[86:87]
	v_fma_f64 v[48:49], v[48:49], 2.0, -v[52:53]
	v_fma_f64 v[50:51], v[50:51], 2.0, -v[54:55]
	v_fma_f64 v[92:93], v[60:61], v[0:1], v[8:9]
	v_mul_f64_e32 v[0:1], v[62:63], v[0:1]
	ds_load_b128 v[8:11], v242 offset:832
	v_add_f64_e64 v[62:63], v[58:59], -v[70:71]
	s_wait_dscnt 0x1
	v_add_f64_e64 v[70:71], v[66:67], -v[74:75]
	v_fma_f64 v[82:83], v[82:83], 2.0, -v[86:87]
	s_wait_dscnt 0x0
	v_add_f64_e64 v[12:13], v[8:9], -v[12:13]
	v_add_f64_e64 v[14:15], v[10:11], -v[14:15]
	;; [unrolled: 1-line block ×3, first 2 shown]
	v_fma_f64 v[94:95], v[60:61], v[2:3], -v[0:1]
	ds_load_b128 v[0:3], v242
	v_add_f64_e64 v[60:61], v[56:57], -v[68:69]
	v_add_f64_e64 v[68:69], v[64:65], -v[72:73]
	ds_load_b128 v[72:75], v242 offset:7488
	v_fma_f64 v[58:59], v[58:59], 2.0, -v[62:63]
	v_fma_f64 v[66:67], v[66:67], 2.0, -v[70:71]
	s_wait_dscnt 0x1
	v_add_f64_e64 v[4:5], v[0:1], -v[4:5]
	v_add_f64_e64 v[6:7], v[2:3], -v[6:7]
	v_fma_f64 v[8:9], v[8:9], 2.0, -v[12:13]
	s_wait_dscnt 0x0
	v_add_f64_e64 v[76:77], v[72:73], -v[76:77]
	v_add_f64_e64 v[78:79], v[74:75], -v[78:79]
	v_fma_f64 v[10:11], v[10:11], 2.0, -v[14:15]
	v_fma_f64 v[88:89], v[88:89], 2.0, -v[92:93]
	v_add_f64_e64 v[94:95], v[90:91], -v[94:95]
	v_fma_f64 v[56:57], v[56:57], 2.0, -v[60:61]
	v_fma_f64 v[64:65], v[64:65], 2.0, -v[68:69]
	;; [unrolled: 1-line block ×7, first 2 shown]
	ds_store_b128 v242, v[4:7] offset:9984
	ds_store_b128 v242, v[12:15] offset:10816
	;; [unrolled: 1-line block ×12, first 2 shown]
	ds_store_b128 v242, v[0:3]
	ds_store_b128 v242, v[8:11] offset:832
	ds_store_b128 v242, v[16:19] offset:1664
	;; [unrolled: 1-line block ×11, first 2 shown]
	global_wb scope:SCOPE_SE
	s_wait_dscnt 0x0
	s_barrier_signal -1
	s_barrier_wait -1
	global_inv scope:SCOPE_SE
	s_clause 0x3
	scratch_load_b128 v[6:9], off, off offset:404 th:TH_LOAD_LU
	scratch_load_b128 v[10:13], off, off offset:388 th:TH_LOAD_LU
	;; [unrolled: 1-line block ×4, first 2 shown]
	ds_load_b128 v[0:3], v242
	s_clause 0x12
	scratch_load_b128 v[22:25], off, off offset:324 th:TH_LOAD_LU
	scratch_load_b128 v[26:29], off, off offset:340 th:TH_LOAD_LU
	;; [unrolled: 1-line block ×19, first 2 shown]
	s_wait_loadcnt_dscnt 0x1600
	v_mul_f64_e32 v[4:5], v[8:9], v[2:3]
	s_delay_alu instid0(VALU_DEP_1) | instskip(SKIP_1) | instid1(VALU_DEP_1)
	v_fma_f64 v[4:5], v[6:7], v[0:1], v[4:5]
	v_mul_f64_e32 v[0:1], v[8:9], v[0:1]
	v_fma_f64 v[6:7], v[6:7], v[2:3], -v[0:1]
	ds_load_b128 v[0:3], v242 offset:9984
	s_wait_loadcnt_dscnt 0x1500
	v_mul_f64_e32 v[8:9], v[12:13], v[2:3]
	s_delay_alu instid0(VALU_DEP_1) | instskip(SKIP_1) | instid1(VALU_DEP_1)
	v_fma_f64 v[8:9], v[10:11], v[0:1], v[8:9]
	v_mul_f64_e32 v[0:1], v[12:13], v[0:1]
	v_fma_f64 v[10:11], v[10:11], v[2:3], -v[0:1]
	ds_load_b128 v[0:3], v242 offset:832
	;; [unrolled: 7-line block ×12, first 2 shown]
	s_wait_dscnt 0x0
	v_mul_f64_e32 v[52:53], v[56:57], v[2:3]
	s_delay_alu instid0(VALU_DEP_1) | instskip(SKIP_1) | instid1(VALU_DEP_1)
	v_fma_f64 v[52:53], v[54:55], v[0:1], v[52:53]
	v_mul_f64_e32 v[0:1], v[56:57], v[0:1]
	v_fma_f64 v[54:55], v[54:55], v[2:3], -v[0:1]
	ds_load_b128 v[0:3], v242 offset:14976
	s_wait_loadcnt_dscnt 0x600
	v_mul_f64_e32 v[56:57], v[60:61], v[2:3]
	s_delay_alu instid0(VALU_DEP_1) | instskip(SKIP_1) | instid1(VALU_DEP_1)
	v_fma_f64 v[56:57], v[58:59], v[0:1], v[56:57]
	v_mul_f64_e32 v[0:1], v[60:61], v[0:1]
	v_fma_f64 v[58:59], v[58:59], v[2:3], -v[0:1]
	ds_load_b128 v[0:3], v242 offset:5824
	s_wait_loadcnt_dscnt 0x500
	;; [unrolled: 7-line block ×6, first 2 shown]
	v_mul_f64_e32 v[76:77], v[80:81], v[2:3]
	s_delay_alu instid0(VALU_DEP_1) | instskip(SKIP_1) | instid1(VALU_DEP_1)
	v_fma_f64 v[76:77], v[78:79], v[0:1], v[76:77]
	v_mul_f64_e32 v[0:1], v[80:81], v[0:1]
	v_fma_f64 v[78:79], v[78:79], v[2:3], -v[0:1]
	ds_load_b128 v[0:3], v242 offset:17472
	s_wait_dscnt 0x0
	v_mul_f64_e32 v[80:81], v[84:85], v[2:3]
	s_delay_alu instid0(VALU_DEP_1) | instskip(SKIP_1) | instid1(VALU_DEP_1)
	v_fma_f64 v[80:81], v[82:83], v[0:1], v[80:81]
	v_mul_f64_e32 v[0:1], v[84:85], v[0:1]
	v_fma_f64 v[82:83], v[82:83], v[2:3], -v[0:1]
	ds_load_b128 v[0:3], v242 offset:8320
	s_wait_dscnt 0x0
	;; [unrolled: 7-line block ×3, first 2 shown]
	v_mul_f64_e32 v[88:89], v[92:93], v[2:3]
	s_delay_alu instid0(VALU_DEP_1) | instskip(SKIP_1) | instid1(VALU_DEP_1)
	v_fma_f64 v[88:89], v[90:91], v[0:1], v[88:89]
	v_mul_f64_e32 v[0:1], v[92:93], v[0:1]
	v_fma_f64 v[90:91], v[90:91], v[2:3], -v[0:1]
	ds_load_b128 v[0:3], v242 offset:9152
	s_wait_loadcnt_dscnt 0x0
	v_mul_f64_e32 v[92:93], v[96:97], v[2:3]
	s_delay_alu instid0(VALU_DEP_1) | instskip(SKIP_1) | instid1(VALU_DEP_1)
	v_fma_f64 v[92:93], v[94:95], v[0:1], v[92:93]
	v_mul_f64_e32 v[0:1], v[96:97], v[0:1]
	v_fma_f64 v[94:95], v[94:95], v[2:3], -v[0:1]
	scratch_load_b64 v[0:1], off, off offset:40 th:TH_LOAD_LU ; 8-byte Folded Reload
	s_wait_alu 0xfffe
	v_mul_f64_e32 v[2:3], s[2:3], v[6:7]
	scratch_load_b32 v6, off, off th:TH_LOAD_LU ; 4-byte Folded Reload
	s_wait_loadcnt 0x1
	v_mov_b32_e32 v1, v0
	s_delay_alu instid0(VALU_DEP_1) | instskip(NEXT) | instid1(VALU_DEP_1)
	v_mad_co_u64_u32 v[96:97], null, s6, v1, 0
	v_mov_b32_e32 v0, v97
	s_delay_alu instid0(VALU_DEP_1) | instskip(SKIP_4) | instid1(VALU_DEP_1)
	v_mad_co_u64_u32 v[0:1], null, s7, v1, v[0:1]
	s_movk_i32 s6, 0xdc40
	s_mov_b32 s7, -1
	s_wait_alu 0xfffe
	s_mul_u64 s[6:7], s[4:5], s[6:7]
	v_mov_b32_e32 v97, v0
	v_mul_f64_e32 v[0:1], s[2:3], v[4:5]
	s_wait_loadcnt 0x0
	v_mad_co_u64_u32 v[4:5], null, s4, v6, 0
	s_delay_alu instid0(VALU_DEP_1) | instskip(SKIP_1) | instid1(VALU_DEP_2)
	v_mad_co_u64_u32 v[5:6], null, s5, v6, v[5:6]
	v_lshlrev_b64_e32 v[6:7], 4, v[96:97]
	v_lshlrev_b64_e32 v[4:5], 4, v[4:5]
	s_delay_alu instid0(VALU_DEP_2) | instskip(SKIP_1) | instid1(VALU_DEP_3)
	v_add_co_u32 v6, vcc_lo, s0, v6
	s_wait_alu 0xfffd
	v_add_co_ci_u32_e32 v7, vcc_lo, s1, v7, vcc_lo
	s_mul_u64 s[0:1], s[4:5], 0x2700
	s_delay_alu instid0(VALU_DEP_2) | instskip(SKIP_1) | instid1(VALU_DEP_2)
	v_add_co_u32 v4, vcc_lo, v6, v4
	s_wait_alu 0xfffd
	v_add_co_ci_u32_e32 v5, vcc_lo, v7, v5, vcc_lo
	global_store_b128 v[4:5], v[0:3], off
	v_mul_f64_e32 v[0:1], s[2:3], v[8:9]
	v_mul_f64_e32 v[2:3], s[2:3], v[10:11]
	s_wait_alu 0xfffe
	v_add_co_u32 v4, vcc_lo, v4, s0
	s_wait_alu 0xfffd
	v_add_co_ci_u32_e32 v5, vcc_lo, s1, v5, vcc_lo
	global_store_b128 v[4:5], v[0:3], off
	v_mul_f64_e32 v[0:1], s[2:3], v[12:13]
	v_mul_f64_e32 v[2:3], s[2:3], v[14:15]
	v_add_co_u32 v4, vcc_lo, v4, s6
	s_wait_alu 0xfffd
	v_add_co_ci_u32_e32 v5, vcc_lo, s7, v5, vcc_lo
	global_store_b128 v[4:5], v[0:3], off
	v_mul_f64_e32 v[0:1], s[2:3], v[16:17]
	v_mul_f64_e32 v[2:3], s[2:3], v[18:19]
	v_add_co_u32 v4, vcc_lo, v4, s0
	s_wait_alu 0xfffd
	v_add_co_ci_u32_e32 v5, vcc_lo, s1, v5, vcc_lo
	scratch_load_b128 v[16:19], off, off offset:196 th:TH_LOAD_LU ; 16-byte Folded Reload
	global_store_b128 v[4:5], v[0:3], off
	v_mul_f64_e32 v[0:1], s[2:3], v[20:21]
	v_mul_f64_e32 v[2:3], s[2:3], v[22:23]
	v_add_co_u32 v4, vcc_lo, v4, s6
	s_wait_alu 0xfffd
	v_add_co_ci_u32_e32 v5, vcc_lo, s7, v5, vcc_lo
	v_mul_f64_e32 v[20:21], s[2:3], v[76:77]
	v_mul_f64_e32 v[22:23], s[2:3], v[78:79]
	global_store_b128 v[4:5], v[0:3], off
	v_mul_f64_e32 v[0:1], s[2:3], v[24:25]
	v_mul_f64_e32 v[2:3], s[2:3], v[26:27]
	v_add_co_u32 v4, vcc_lo, v4, s0
	s_wait_alu 0xfffd
	v_add_co_ci_u32_e32 v5, vcc_lo, s1, v5, vcc_lo
	v_mul_f64_e32 v[24:25], s[2:3], v[80:81]
	v_mul_f64_e32 v[26:27], s[2:3], v[82:83]
	;; [unrolled: 8-line block ×5, first 2 shown]
	s_delay_alu instid0(VALU_DEP_3) | instskip(NEXT) | instid1(VALU_DEP_1)
	v_mad_co_u64_u32 v[8:9], null, 0x340, s4, v[4:5]
	v_mad_co_u64_u32 v[9:10], null, 0x340, s5, v[9:10]
	v_mul_f64_e32 v[10:11], s[2:3], v[54:55]
	global_store_b128 v[4:5], v[0:3], off
	scratch_load_b32 v2, off, off offset:48 th:TH_LOAD_LU ; 4-byte Folded Reload
	v_mul_f64_e32 v[4:5], s[2:3], v[48:49]
	s_wait_loadcnt 0x0
	v_mad_co_u64_u32 v[0:1], null, s4, v2, 0
	s_delay_alu instid0(VALU_DEP_1) | instskip(SKIP_1) | instid1(VALU_DEP_2)
	v_mad_co_u64_u32 v[1:2], null, s5, v2, v[1:2]
	v_mul_f64_e32 v[2:3], s[2:3], v[42:43]
	v_lshlrev_b64_e32 v[0:1], 4, v[0:1]
	s_delay_alu instid0(VALU_DEP_1) | instskip(SKIP_1) | instid1(VALU_DEP_2)
	v_add_co_u32 v6, vcc_lo, v6, v0
	s_wait_alu 0xfffd
	v_add_co_ci_u32_e32 v7, vcc_lo, v7, v1, vcc_lo
	v_mul_f64_e32 v[0:1], s[2:3], v[40:41]
	v_add_co_u32 v12, vcc_lo, v8, s0
	s_wait_alu 0xfffd
	v_add_co_ci_u32_e32 v13, vcc_lo, s1, v9, vcc_lo
	global_store_b128 v[6:7], v[0:3], off
	v_mul_f64_e32 v[0:1], s[2:3], v[44:45]
	v_mul_f64_e32 v[2:3], s[2:3], v[46:47]
	v_mul_f64_e32 v[6:7], s[2:3], v[50:51]
	global_store_b128 v[8:9], v[0:3], off
	ds_load_b128 v[0:3], v242 offset:19136
	global_store_b128 v[12:13], v[4:7], off
	v_mul_f64_e32 v[8:9], s[2:3], v[52:53]
	v_add_co_u32 v6, vcc_lo, v12, s6
	s_wait_alu 0xfffd
	v_add_co_ci_u32_e32 v7, vcc_lo, s7, v13, vcc_lo
	v_mul_f64_e32 v[12:13], s[2:3], v[68:69]
	s_delay_alu instid0(VALU_DEP_3) | instskip(SKIP_1) | instid1(VALU_DEP_3)
	v_add_co_u32 v44, vcc_lo, v6, s0
	s_wait_alu 0xfffd
	v_add_co_ci_u32_e32 v45, vcc_lo, s1, v7, vcc_lo
	s_delay_alu instid0(VALU_DEP_2) | instskip(SKIP_1) | instid1(VALU_DEP_2)
	v_add_co_u32 v46, vcc_lo, v44, s6
	s_wait_alu 0xfffd
	v_add_co_ci_u32_e32 v47, vcc_lo, s7, v45, vcc_lo
	s_delay_alu instid0(VALU_DEP_2)
	v_add_co_u32 v48, vcc_lo, v46, s0
	s_wait_dscnt 0x0
	v_mul_f64_e32 v[14:15], v[18:19], v[2:3]
	v_mul_f64_e32 v[4:5], v[18:19], v[0:1]
	s_wait_alu 0xfffd
	v_add_co_ci_u32_e32 v49, vcc_lo, s1, v47, vcc_lo
	v_mul_f64_e32 v[18:19], s[2:3], v[74:75]
	v_add_co_u32 v50, vcc_lo, v48, s6
	s_wait_alu 0xfffd
	s_delay_alu instid0(VALU_DEP_3) | instskip(NEXT) | instid1(VALU_DEP_2)
	v_add_co_ci_u32_e32 v51, vcc_lo, s7, v49, vcc_lo
	v_add_co_u32 v52, vcc_lo, v50, s0
	s_wait_alu 0xfffd
	s_delay_alu instid0(VALU_DEP_2)
	v_add_co_ci_u32_e32 v53, vcc_lo, s1, v51, vcc_lo
	global_store_b128 v[6:7], v[8:11], off
	v_mul_f64_e32 v[6:7], s[2:3], v[62:63]
	v_mul_f64_e32 v[8:9], s[2:3], v[64:65]
	;; [unrolled: 1-line block ×3, first 2 shown]
	v_fma_f64 v[40:41], v[16:17], v[0:1], v[14:15]
	v_fma_f64 v[42:43], v[16:17], v[2:3], -v[4:5]
	v_mul_f64_e32 v[0:1], s[2:3], v[56:57]
	v_mul_f64_e32 v[2:3], s[2:3], v[58:59]
	;; [unrolled: 1-line block ×7, first 2 shown]
	global_store_b128 v[44:45], v[0:3], off
	v_add_co_u32 v0, vcc_lo, v52, s6
	s_wait_alu 0xfffd
	v_add_co_ci_u32_e32 v1, vcc_lo, s7, v53, vcc_lo
	global_store_b128 v[46:47], v[4:7], off
	v_add_co_u32 v2, vcc_lo, v0, s0
	s_wait_alu 0xfffd
	v_add_co_ci_u32_e32 v3, vcc_lo, s1, v1, vcc_lo
	;; [unrolled: 4-line block ×6, first 2 shown]
	global_store_b128 v[2:3], v[24:27], off
	global_store_b128 v[4:5], v[28:31], off
	;; [unrolled: 1-line block ×5, first 2 shown]
.LBB0_10:
	s_nop 0
	s_sendmsg sendmsg(MSG_DEALLOC_VGPRS)
	s_endpgm
	.section	.rodata,"a",@progbits
	.p2align	6, 0x0
	.amdhsa_kernel bluestein_single_back_len1248_dim1_dp_op_CI_CI
		.amdhsa_group_segment_fixed_size 19968
		.amdhsa_private_segment_fixed_size 1084
		.amdhsa_kernarg_size 104
		.amdhsa_user_sgpr_count 2
		.amdhsa_user_sgpr_dispatch_ptr 0
		.amdhsa_user_sgpr_queue_ptr 0
		.amdhsa_user_sgpr_kernarg_segment_ptr 1
		.amdhsa_user_sgpr_dispatch_id 0
		.amdhsa_user_sgpr_private_segment_size 0
		.amdhsa_wavefront_size32 1
		.amdhsa_uses_dynamic_stack 0
		.amdhsa_enable_private_segment 1
		.amdhsa_system_sgpr_workgroup_id_x 1
		.amdhsa_system_sgpr_workgroup_id_y 0
		.amdhsa_system_sgpr_workgroup_id_z 0
		.amdhsa_system_sgpr_workgroup_info 0
		.amdhsa_system_vgpr_workitem_id 0
		.amdhsa_next_free_vgpr 256
		.amdhsa_next_free_sgpr 48
		.amdhsa_reserve_vcc 1
		.amdhsa_float_round_mode_32 0
		.amdhsa_float_round_mode_16_64 0
		.amdhsa_float_denorm_mode_32 3
		.amdhsa_float_denorm_mode_16_64 3
		.amdhsa_fp16_overflow 0
		.amdhsa_workgroup_processor_mode 1
		.amdhsa_memory_ordered 1
		.amdhsa_forward_progress 0
		.amdhsa_round_robin_scheduling 0
		.amdhsa_exception_fp_ieee_invalid_op 0
		.amdhsa_exception_fp_denorm_src 0
		.amdhsa_exception_fp_ieee_div_zero 0
		.amdhsa_exception_fp_ieee_overflow 0
		.amdhsa_exception_fp_ieee_underflow 0
		.amdhsa_exception_fp_ieee_inexact 0
		.amdhsa_exception_int_div_zero 0
	.end_amdhsa_kernel
	.text
.Lfunc_end0:
	.size	bluestein_single_back_len1248_dim1_dp_op_CI_CI, .Lfunc_end0-bluestein_single_back_len1248_dim1_dp_op_CI_CI
                                        ; -- End function
	.section	.AMDGPU.csdata,"",@progbits
; Kernel info:
; codeLenInByte = 39916
; NumSgprs: 50
; NumVgprs: 256
; ScratchSize: 1084
; MemoryBound: 0
; FloatMode: 240
; IeeeMode: 1
; LDSByteSize: 19968 bytes/workgroup (compile time only)
; SGPRBlocks: 6
; VGPRBlocks: 31
; NumSGPRsForWavesPerEU: 50
; NumVGPRsForWavesPerEU: 256
; Occupancy: 3
; WaveLimiterHint : 1
; COMPUTE_PGM_RSRC2:SCRATCH_EN: 1
; COMPUTE_PGM_RSRC2:USER_SGPR: 2
; COMPUTE_PGM_RSRC2:TRAP_HANDLER: 0
; COMPUTE_PGM_RSRC2:TGID_X_EN: 1
; COMPUTE_PGM_RSRC2:TGID_Y_EN: 0
; COMPUTE_PGM_RSRC2:TGID_Z_EN: 0
; COMPUTE_PGM_RSRC2:TIDIG_COMP_CNT: 0
	.text
	.p2alignl 7, 3214868480
	.fill 96, 4, 3214868480
	.type	__hip_cuid_c3069ee3c6217366,@object ; @__hip_cuid_c3069ee3c6217366
	.section	.bss,"aw",@nobits
	.globl	__hip_cuid_c3069ee3c6217366
__hip_cuid_c3069ee3c6217366:
	.byte	0                               ; 0x0
	.size	__hip_cuid_c3069ee3c6217366, 1

	.ident	"AMD clang version 19.0.0git (https://github.com/RadeonOpenCompute/llvm-project roc-6.4.0 25133 c7fe45cf4b819c5991fe208aaa96edf142730f1d)"
	.section	".note.GNU-stack","",@progbits
	.addrsig
	.addrsig_sym __hip_cuid_c3069ee3c6217366
	.amdgpu_metadata
---
amdhsa.kernels:
  - .args:
      - .actual_access:  read_only
        .address_space:  global
        .offset:         0
        .size:           8
        .value_kind:     global_buffer
      - .actual_access:  read_only
        .address_space:  global
        .offset:         8
        .size:           8
        .value_kind:     global_buffer
      - .actual_access:  read_only
        .address_space:  global
        .offset:         16
        .size:           8
        .value_kind:     global_buffer
      - .actual_access:  read_only
        .address_space:  global
        .offset:         24
        .size:           8
        .value_kind:     global_buffer
      - .actual_access:  read_only
        .address_space:  global
        .offset:         32
        .size:           8
        .value_kind:     global_buffer
      - .offset:         40
        .size:           8
        .value_kind:     by_value
      - .address_space:  global
        .offset:         48
        .size:           8
        .value_kind:     global_buffer
      - .address_space:  global
        .offset:         56
        .size:           8
        .value_kind:     global_buffer
      - .address_space:  global
        .offset:         64
        .size:           8
        .value_kind:     global_buffer
      - .address_space:  global
        .offset:         72
        .size:           8
        .value_kind:     global_buffer
      - .offset:         80
        .size:           4
        .value_kind:     by_value
      - .address_space:  global
        .offset:         88
        .size:           8
        .value_kind:     global_buffer
      - .address_space:  global
        .offset:         96
        .size:           8
        .value_kind:     global_buffer
    .group_segment_fixed_size: 19968
    .kernarg_segment_align: 8
    .kernarg_segment_size: 104
    .language:       OpenCL C
    .language_version:
      - 2
      - 0
    .max_flat_workgroup_size: 52
    .name:           bluestein_single_back_len1248_dim1_dp_op_CI_CI
    .private_segment_fixed_size: 1084
    .sgpr_count:     50
    .sgpr_spill_count: 0
    .symbol:         bluestein_single_back_len1248_dim1_dp_op_CI_CI.kd
    .uniform_work_group_size: 1
    .uses_dynamic_stack: false
    .vgpr_count:     256
    .vgpr_spill_count: 316
    .wavefront_size: 32
    .workgroup_processor_mode: 1
amdhsa.target:   amdgcn-amd-amdhsa--gfx1201
amdhsa.version:
  - 1
  - 2
...

	.end_amdgpu_metadata
